;; amdgpu-corpus repo=ROCm/rocFFT kind=compiled arch=gfx1201 opt=O3
	.text
	.amdgcn_target "amdgcn-amd-amdhsa--gfx1201"
	.amdhsa_code_object_version 6
	.protected	bluestein_single_fwd_len2560_dim1_half_op_CI_CI ; -- Begin function bluestein_single_fwd_len2560_dim1_half_op_CI_CI
	.globl	bluestein_single_fwd_len2560_dim1_half_op_CI_CI
	.p2align	8
	.type	bluestein_single_fwd_len2560_dim1_half_op_CI_CI,@function
bluestein_single_fwd_len2560_dim1_half_op_CI_CI: ; @bluestein_single_fwd_len2560_dim1_half_op_CI_CI
; %bb.0:
	s_load_b128 s[16:19], s[0:1], 0x28
	s_mov_b32 s2, ttmp9
	s_mov_b32 s3, 0
	s_mov_b32 s5, exec_lo
	s_wait_kmcnt 0x0
	v_cmpx_lt_u64_e64 s[2:3], s[16:17]
	s_cbranch_execz .LBB0_2
; %bb.1:
	s_clause 0x1
	s_load_b128 s[4:7], s[0:1], 0x18
	s_load_b128 s[8:11], s[0:1], 0x0
	v_dual_mov_b32 v31, s3 :: v_dual_mov_b32 v30, s2
	v_lshlrev_b32_e32 v52, 2, v0
	s_movk_i32 s2, 0xe400
	s_mov_b32 s3, -1
	v_lshlrev_b32_e32 v90, 4, v0
	s_wait_kmcnt 0x0
	s_load_b128 s[12:15], s[4:5], 0x0
	s_clause 0x12
	global_load_b32 v66, v52, s[8:9] offset:3584
	global_load_b32 v83, v52, s[8:9]
	global_load_b32 v76, v52, s[8:9] offset:512
	global_load_b32 v68, v52, s[8:9] offset:1024
	;; [unrolled: 1-line block ×17, first 2 shown]
	s_wait_kmcnt 0x0
	v_mad_co_u64_u32 v[1:2], null, s14, v30, 0
	v_mad_co_u64_u32 v[3:4], null, s12, v0, 0
	s_mul_u64 s[4:5], s[12:13], 0xa00
	s_delay_alu instid0(VALU_DEP_1) | instskip(NEXT) | instid1(VALU_DEP_1)
	v_mad_co_u64_u32 v[5:6], null, s15, v30, v[2:3]
	v_mad_co_u64_u32 v[6:7], null, s13, v0, v[4:5]
	v_mov_b32_e32 v2, v5
	s_mul_u64 s[12:13], s[12:13], s[2:3]
	s_delay_alu instid0(VALU_DEP_1) | instskip(NEXT) | instid1(VALU_DEP_3)
	v_lshlrev_b64_e32 v[1:2], 2, v[1:2]
	v_mov_b32_e32 v4, v6
	s_delay_alu instid0(VALU_DEP_2) | instskip(NEXT) | instid1(VALU_DEP_2)
	v_add_co_u32 v1, vcc_lo, s18, v1
	v_lshlrev_b64_e32 v[3:4], 2, v[3:4]
	s_delay_alu instid0(VALU_DEP_4) | instskip(NEXT) | instid1(VALU_DEP_2)
	v_add_co_ci_u32_e32 v2, vcc_lo, s19, v2, vcc_lo
	v_add_co_u32 v1, vcc_lo, v1, v3
	s_wait_alu 0xfffd
	s_delay_alu instid0(VALU_DEP_2) | instskip(NEXT) | instid1(VALU_DEP_2)
	v_add_co_ci_u32_e32 v2, vcc_lo, v2, v4, vcc_lo
	v_add_co_u32 v3, vcc_lo, v1, s4
	s_wait_alu 0xfffd
	s_delay_alu instid0(VALU_DEP_2)
	v_add_co_ci_u32_e32 v4, vcc_lo, s5, v2, vcc_lo
	global_load_b32 v5, v[1:2], off
	v_add_co_u32 v1, vcc_lo, v3, s4
	s_wait_alu 0xfffd
	v_add_co_ci_u32_e32 v2, vcc_lo, s5, v4, vcc_lo
	global_load_b32 v6, v[3:4], off
	global_load_b32 v45, v52, s[8:9] offset:9728
	global_load_b32 v7, v[1:2], off
	v_add_co_u32 v1, vcc_lo, v1, s4
	s_wait_alu 0xfffd
	v_add_co_ci_u32_e32 v2, vcc_lo, s5, v2, vcc_lo
	s_wait_alu 0xfffe
	s_delay_alu instid0(VALU_DEP_2) | instskip(SKIP_1) | instid1(VALU_DEP_2)
	v_add_co_u32 v3, vcc_lo, v1, s12
	s_wait_alu 0xfffd
	v_add_co_ci_u32_e32 v4, vcc_lo, s13, v2, vcc_lo
	s_clause 0x1
	global_load_b32 v8, v[1:2], off
	global_load_b32 v9, v[3:4], off
	v_add_co_u32 v1, vcc_lo, v3, s4
	s_wait_alu 0xfffd
	v_add_co_ci_u32_e32 v2, vcc_lo, s5, v4, vcc_lo
	s_delay_alu instid0(VALU_DEP_2) | instskip(SKIP_1) | instid1(VALU_DEP_2)
	v_add_co_u32 v3, vcc_lo, v1, s4
	s_wait_alu 0xfffd
	v_add_co_ci_u32_e32 v4, vcc_lo, s5, v2, vcc_lo
	global_load_b32 v10, v[1:2], off
	global_load_b32 v11, v[3:4], off
	v_add_co_u32 v1, vcc_lo, v3, s4
	s_wait_alu 0xfffd
	v_add_co_ci_u32_e32 v2, vcc_lo, s5, v4, vcc_lo
	s_delay_alu instid0(VALU_DEP_2) | instskip(SKIP_1) | instid1(VALU_DEP_2)
	v_add_co_u32 v3, vcc_lo, v1, s12
	s_wait_alu 0xfffd
	v_add_co_ci_u32_e32 v4, vcc_lo, s13, v2, vcc_lo
	;; [unrolled: 9-line block ×3, first 2 shown]
	global_load_b32 v14, v[1:2], off
	v_add_co_u32 v1, vcc_lo, v3, s4
	s_wait_alu 0xfffd
	v_add_co_ci_u32_e32 v2, vcc_lo, s5, v4, vcc_lo
	global_load_b32 v15, v[3:4], off
	global_load_b32 v16, v[1:2], off
	v_add_co_u32 v1, vcc_lo, v1, s12
	s_wait_alu 0xfffd
	v_add_co_ci_u32_e32 v2, vcc_lo, s13, v2, vcc_lo
	s_delay_alu instid0(VALU_DEP_2) | instskip(SKIP_1) | instid1(VALU_DEP_2)
	v_add_co_u32 v3, vcc_lo, v1, s4
	s_wait_alu 0xfffd
	v_add_co_ci_u32_e32 v4, vcc_lo, s5, v2, vcc_lo
	global_load_b32 v17, v[1:2], off
	v_add_co_u32 v1, vcc_lo, v3, s4
	s_wait_alu 0xfffd
	v_add_co_ci_u32_e32 v2, vcc_lo, s5, v4, vcc_lo
	global_load_b32 v18, v[3:4], off
	global_load_b32 v19, v[1:2], off
	v_add_co_u32 v1, vcc_lo, v1, s4
	s_wait_alu 0xfffd
	v_add_co_ci_u32_e32 v2, vcc_lo, s5, v2, vcc_lo
	s_delay_alu instid0(VALU_DEP_2) | instskip(SKIP_1) | instid1(VALU_DEP_2)
	v_add_co_u32 v3, vcc_lo, v1, s12
	s_wait_alu 0xfffd
	v_add_co_ci_u32_e32 v4, vcc_lo, s13, v2, vcc_lo
	global_load_b32 v20, v[1:2], off
	v_add_co_u32 v1, vcc_lo, v3, s4
	s_wait_alu 0xfffd
	v_add_co_ci_u32_e32 v2, vcc_lo, s5, v4, vcc_lo
	global_load_b32 v21, v[3:4], off
	;; [unrolled: 4-line block ×4, first 2 shown]
	global_load_b32 v1, v[1:2], off
	s_load_b128 s[4:7], s[6:7], 0x0
	s_wait_kmcnt 0x0
	s_mul_u64 s[2:3], s[4:5], s[2:3]
	s_wait_loadcnt 0x27
	v_lshrrev_b32_e32 v67, 16, v66
	s_wait_loadcnt 0x26
	v_lshrrev_b32_e32 v85, 16, v83
	;; [unrolled: 2-line block ×6, first 2 shown]
	v_lshrrev_b32_e32 v73, 16, v72
	s_wait_loadcnt 0x17
	v_lshrrev_b32_e32 v79, 16, v78
	v_lshrrev_b32_e32 v71, 16, v70
	;; [unrolled: 1-line block ×10, first 2 shown]
	s_wait_loadcnt 0x15
	v_lshrrev_b32_e32 v50, 16, v49
	v_lshrrev_b32_e32 v48, 16, v47
	s_wait_loadcnt 0x14
	v_lshrrev_b32_e32 v2, 16, v5
	v_mul_f16_e32 v4, v85, v5
	s_wait_loadcnt 0x13
	v_lshrrev_b32_e32 v24, 16, v6
	s_delay_alu instid0(VALU_DEP_3)
	v_mul_f16_e32 v23, v85, v2
	v_mul_f16_e32 v25, v84, v6
	v_fma_f16 v2, v83, v2, -v4
	s_wait_loadcnt 0x12
	v_lshrrev_b32_e32 v46, 16, v45
	v_mul_f16_e32 v4, v84, v24
	v_fmac_f16_e32 v23, v83, v5
	s_wait_loadcnt 0x11
	v_lshrrev_b32_e32 v5, 16, v7
	v_fma_f16 v24, v82, v24, -v25
	v_mul_f16_e32 v25, v81, v7
	v_fmac_f16_e32 v4, v82, v6
	v_pack_b32_f16 v2, v23, v2
	v_mul_f16_e32 v6, v81, v5
	s_wait_loadcnt 0x10
	v_lshrrev_b32_e32 v23, 16, v8
	v_fma_f16 v5, v80, v5, -v25
	v_mul_f16_e32 v25, v79, v8
	v_pack_b32_f16 v4, v4, v24
	v_fmac_f16_e32 v6, v80, v7
	v_mul_f16_e32 v7, v79, v23
	s_wait_loadcnt 0xf
	v_lshrrev_b32_e32 v24, 16, v9
	v_fma_f16 v23, v78, v23, -v25
	v_mul_f16_e32 v25, v77, v9
	v_pack_b32_f16 v5, v6, v5
	v_fmac_f16_e32 v7, v78, v8
	;; [unrolled: 7-line block ×3, first 2 shown]
	v_mul_f16_e32 v9, v75, v8
	s_wait_loadcnt 0xd
	v_lshrrev_b32_e32 v23, 16, v11
	v_mul_f16_e32 v26, v73, v11
	v_fma_f16 v8, v74, v8, -v25
	v_pack_b32_f16 v6, v6, v24
	v_fmac_f16_e32 v9, v74, v10
	v_mul_f16_e32 v10, v73, v23
	s_wait_loadcnt 0xc
	v_lshrrev_b32_e32 v24, 16, v12
	v_fma_f16 v23, v72, v23, -v26
	v_mul_f16_e32 v25, v71, v12
	ds_store_2addr_stride64_b32 v52, v2, v6 offset1:2
	v_pack_b32_f16 v2, v9, v8
	v_fmac_f16_e32 v10, v72, v11
	v_mul_f16_e32 v6, v71, v24
	s_wait_loadcnt 0xb
	v_lshrrev_b32_e32 v8, 16, v13
	v_mul_f16_e32 v9, v69, v13
	v_fma_f16 v11, v70, v24, -v25
	v_pack_b32_f16 v10, v10, v23
	v_fmac_f16_e32 v6, v70, v12
	v_mul_f16_e32 v12, v69, v8
	v_fma_f16 v8, v68, v8, -v9
	s_wait_loadcnt 0xa
	v_lshrrev_b32_e32 v9, 16, v14
	v_mul_f16_e32 v23, v67, v14
	ds_store_2addr_stride64_b32 v52, v5, v10 offset0:20 offset1:22
	v_pack_b32_f16 v5, v6, v11
	v_fmac_f16_e32 v12, v68, v13
	v_mul_f16_e32 v6, v67, v9
	s_wait_loadcnt 0x9
	v_lshrrev_b32_e32 v10, 16, v15
	v_fma_f16 v9, v66, v9, -v23
	v_mul_f16_e32 v11, v65, v15
	v_pack_b32_f16 v8, v12, v8
	v_fmac_f16_e32 v6, v66, v14
	v_mul_f16_e32 v12, v65, v10
	s_wait_loadcnt 0x8
	v_lshrrev_b32_e32 v13, 16, v16
	v_mul_f16_e32 v14, v63, v16
	v_fma_f16 v10, v64, v10, -v11
	v_pack_b32_f16 v6, v6, v9
	v_fmac_f16_e32 v12, v64, v15
	v_mul_f16_e32 v9, v63, v13
	v_fma_f16 v11, v62, v13, -v14
	s_wait_loadcnt 0x7
	v_lshrrev_b32_e32 v13, 16, v17
	v_mul_f16_e32 v14, v61, v17
	ds_store_2addr_stride64_b32 v52, v2, v6 offset0:12 offset1:14
	v_pack_b32_f16 v2, v12, v10
	v_fmac_f16_e32 v9, v62, v16
	v_mul_f16_e32 v6, v61, v13
	s_wait_loadcnt 0x6
	v_lshrrev_b32_e32 v10, 16, v18
	v_mul_f16_e32 v12, v59, v18
	v_fma_f16 v13, v60, v13, -v14
	v_pack_b32_f16 v9, v9, v11
	v_fmac_f16_e32 v6, v60, v17
	v_mul_f16_e32 v11, v59, v10
	v_fma_f16 v10, v58, v10, -v12
	s_wait_loadcnt 0x5
	v_lshrrev_b32_e32 v12, 16, v19
	v_mul_f16_e32 v14, v57, v19
	ds_store_2addr_stride64_b32 v52, v5, v9 offset0:32 offset1:34
	v_pack_b32_f16 v5, v6, v13
	v_fmac_f16_e32 v11, v58, v18
	v_mul_f16_e32 v6, v57, v12
	v_fma_f16 v9, v56, v12, -v14
	s_wait_loadcnt 0x4
	v_lshrrev_b32_e32 v12, 16, v20
	v_mul_f16_e32 v13, v55, v20
	ds_store_2addr_stride64_b32 v52, v8, v5 offset0:4 offset1:6
	v_pack_b32_f16 v5, v11, v10
	v_fmac_f16_e32 v6, v56, v19
	s_wait_loadcnt 0x3
	v_lshrrev_b32_e32 v8, 16, v21
	v_mul_f16_e32 v10, v55, v12
	v_fma_f16 v11, v54, v12, -v13
	v_mul_f16_e32 v12, v53, v21
	s_wait_loadcnt 0x2
	v_lshrrev_b32_e32 v13, 16, v22
	v_pack_b32_f16 v6, v6, v9
	v_mul_f16_e32 v9, v53, v8
	s_wait_loadcnt 0x1
	v_lshrrev_b32_e32 v14, 16, v3
	v_fma_f16 v8, v51, v8, -v12
	v_mul_f16_e32 v12, v50, v22
	s_wait_loadcnt 0x0
	v_lshrrev_b32_e32 v16, 16, v1
	v_mul_f16_e32 v15, v50, v13
	v_mul_f16_e32 v17, v48, v14
	;; [unrolled: 1-line block ×3, first 2 shown]
	v_fma_f16 v12, v49, v13, -v12
	v_mul_f16_e32 v13, v48, v3
	v_mul_f16_e32 v19, v46, v16
	v_fmac_f16_e32 v9, v51, v21
	v_fmac_f16_e32 v15, v49, v22
	;; [unrolled: 1-line block ×3, first 2 shown]
	v_fma_f16 v13, v47, v14, -v13
	v_fmac_f16_e32 v17, v47, v3
	v_fma_f16 v3, v45, v16, -v18
	v_fmac_f16_e32 v19, v45, v1
	v_pack_b32_f16 v8, v9, v8
	v_pack_b32_f16 v9, v15, v12
	;; [unrolled: 1-line block ×5, first 2 shown]
	ds_store_2addr_stride64_b32 v52, v2, v6 offset0:24 offset1:26
	ds_store_2addr_stride64_b32 v52, v8, v4 offset0:8 offset1:10
	;; [unrolled: 1-line block ×5, first 2 shown]
	global_wb scope:SCOPE_SE
	s_wait_dscnt 0x0
	s_barrier_signal -1
	s_barrier_wait -1
	global_inv scope:SCOPE_SE
	ds_load_2addr_stride64_b32 v[1:2], v52 offset1:2
	ds_load_2addr_stride64_b32 v[3:4], v52 offset0:8 offset1:10
	ds_load_2addr_stride64_b32 v[5:6], v52 offset0:20 offset1:22
	;; [unrolled: 1-line block ×9, first 2 shown]
	v_and_b32_e32 v23, 3, v0
	global_wb scope:SCOPE_SE
	s_wait_dscnt 0x0
	s_barrier_signal -1
	s_barrier_wait -1
	global_inv scope:SCOPE_SE
	v_mad_co_u64_u32 v[21:22], null, v23, 12, s[10:11]
	v_pk_add_f16 v5, v1, v5 neg_lo:[0,1] neg_hi:[0,1]
	v_pk_add_f16 v8, v4, v8 neg_lo:[0,1] neg_hi:[0,1]
	;; [unrolled: 1-line block ×10, first 2 shown]
	v_pk_fma_f16 v1, v1, 2.0, v5 op_sel_hi:[1,0,1] neg_lo:[0,0,1] neg_hi:[0,0,1]
	v_pk_fma_f16 v4, v4, 2.0, v8 op_sel_hi:[1,0,1] neg_lo:[0,0,1] neg_hi:[0,0,1]
	v_lshrrev_b32_e32 v7, 16, v8
	v_lshrrev_b32_e32 v26, 16, v5
	;; [unrolled: 1-line block ×4, first 2 shown]
	v_pk_fma_f16 v13, v13, 2.0, v24 op_sel_hi:[1,0,1] neg_lo:[0,0,1] neg_hi:[0,0,1]
	v_pk_fma_f16 v10, v10, 2.0, v12 op_sel_hi:[1,0,1] neg_lo:[0,0,1] neg_hi:[0,0,1]
	v_lshrrev_b32_e32 v28, 16, v12
	v_lshrrev_b32_e32 v29, 16, v24
	v_pk_fma_f16 v14, v14, 2.0, v16 op_sel_hi:[1,0,1] neg_lo:[0,0,1] neg_hi:[0,0,1]
	v_pk_fma_f16 v17, v17, 2.0, v19 op_sel_hi:[1,0,1] neg_lo:[0,0,1] neg_hi:[0,0,1]
	v_lshrrev_b32_e32 v31, 16, v19
	v_lshrrev_b32_e32 v32, 16, v16
	;; [unrolled: 4-line block ×3, first 2 shown]
	v_pk_fma_f16 v2, v2, 2.0, v6 op_sel_hi:[1,0,1] neg_lo:[0,0,1] neg_hi:[0,0,1]
	v_pk_fma_f16 v9, v9, 2.0, v11 op_sel_hi:[1,0,1] neg_lo:[0,0,1] neg_hi:[0,0,1]
	v_pk_add_f16 v3, v1, v4 neg_lo:[0,1] neg_hi:[0,1]
	v_sub_f16_e32 v4, v5, v7
	v_add_f16_e32 v8, v26, v8
	v_sub_f16_e32 v36, v6, v15
	v_add_f16_e32 v37, v27, v11
	v_pk_add_f16 v11, v13, v10 neg_lo:[0,1] neg_hi:[0,1]
	v_sub_f16_e32 v10, v24, v28
	v_add_f16_e32 v12, v29, v12
	v_pk_add_f16 v15, v14, v17 neg_lo:[0,1] neg_hi:[0,1]
	;; [unrolled: 3-line block ×4, first 2 shown]
	v_fma_f16 v34, v5, 2.0, -v4
	v_fma_f16 v26, v26, 2.0, -v8
	;; [unrolled: 1-line block ×6, first 2 shown]
	v_pk_fma_f16 v9, v13, 2.0, v11 op_sel_hi:[1,0,1] neg_lo:[0,0,1] neg_hi:[0,0,1]
	v_pk_fma_f16 v13, v14, 2.0, v15 op_sel_hi:[1,0,1] neg_lo:[0,0,1] neg_hi:[0,0,1]
	v_fma_f16 v14, v16, 2.0, -v28
	v_fma_f16 v32, v32, 2.0, -v31
	v_pk_fma_f16 v17, v33, 2.0, v19 op_sel_hi:[1,0,1] neg_lo:[0,0,1] neg_hi:[0,0,1]
	v_fma_f16 v25, v25, 2.0, -v18
	v_fma_f16 v33, v35, 2.0, -v20
	v_pk_fma_f16 v1, v1, 2.0, v3 op_sel_hi:[1,0,1] neg_lo:[0,0,1] neg_hi:[0,0,1]
	v_pk_fma_f16 v5, v2, 2.0, v7 op_sel_hi:[1,0,1] neg_lo:[0,0,1] neg_hi:[0,0,1]
	v_pack_b32_f16 v4, v4, v8
	v_pack_b32_f16 v2, v34, v26
	;; [unrolled: 1-line block ×10, first 2 shown]
	ds_store_b128 v90, v[1:4]
	ds_store_b128 v90, v[5:8] offset:2048
	ds_store_b128 v90, v[9:12] offset:4096
	;; [unrolled: 1-line block ×4, first 2 shown]
	global_wb scope:SCOPE_SE
	s_wait_dscnt 0x0
	s_barrier_signal -1
	s_barrier_wait -1
	global_inv scope:SCOPE_SE
	global_load_b96 v[12:14], v[21:22], off
	v_or_b32_e32 v15, 0x80, v0
	v_or_b32_e32 v33, 0x600, v52
	;; [unrolled: 1-line block ×3, first 2 shown]
	v_and_or_b32 v1, 0x1f0, v52, v23
	v_or_b32_e32 v32, 0x400, v52
	v_lshlrev_b32_e32 v29, 2, v15
	v_and_or_b32 v20, 0x7f0, v33, v23
	v_and_or_b32 v22, 0x9f0, v34, v23
	v_lshlrev_b32_e32 v36, 2, v1
	ds_load_2addr_stride64_b32 v[1:2], v52 offset1:2
	ds_load_2addr_stride64_b32 v[3:4], v52 offset0:8 offset1:10
	ds_load_2addr_stride64_b32 v[5:6], v52 offset0:20 offset1:22
	;; [unrolled: 1-line block ×3, first 2 shown]
	v_and_or_b32 v9, 0x3f0, v29, v23
	v_lshlrev_b32_e32 v39, 2, v20
	v_and_or_b32 v11, 0x5f0, v32, v23
	v_lshlrev_b32_e32 v40, 2, v22
	v_and_b32_e32 v28, 15, v0
	v_lshlrev_b32_e32 v37, 2, v9
	ds_load_2addr_stride64_b32 v[9:10], v52 offset0:12 offset1:14
	ds_load_2addr_stride64_b32 v[16:17], v52 offset0:32 offset1:34
	;; [unrolled: 1-line block ×6, first 2 shown]
	v_lshlrev_b32_e32 v38, 2, v11
	v_mad_co_u64_u32 v[24:25], null, v28, 12, s[10:11]
	global_wb scope:SCOPE_SE
	s_wait_loadcnt_dscnt 0x0
	s_barrier_signal -1
	v_lshrrev_b32_e32 v11, 16, v1
	v_lshrrev_b32_e32 v31, 16, v4
	;; [unrolled: 1-line block ×8, first 2 shown]
	s_barrier_wait -1
	global_inv scope:SCOPE_SE
	v_lshrrev_b32_e32 v43, 16, v9
	v_lshrrev_b32_e32 v87, 16, v16
	;; [unrolled: 1-line block ×13, first 2 shown]
	s_delay_alu instid0(VALU_DEP_1) | instskip(SKIP_3) | instid1(VALU_DEP_3)
	v_mul_u32_u24_e32 v15, 0x280, v15
	v_lshrrev_b32_e32 v91, 16, v12
	v_lshrrev_b32_e32 v89, 16, v13
	;; [unrolled: 1-line block ×3, first 2 shown]
	v_mul_f16_e32 v103, v31, v91
	v_mul_f16_e32 v104, v4, v91
	s_delay_alu instid0(VALU_DEP_4)
	v_mul_f16_e32 v105, v35, v89
	v_mul_f16_e32 v106, v5, v89
	;; [unrolled: 1-line block ×23, first 2 shown]
	v_mul_f16_e64 v128, v23, v91
	v_mul_f16_e64 v129, v101, v89
	;; [unrolled: 1-line block ×5, first 2 shown]
	v_fma_f16 v5, v5, v13, -v105
	v_fmac_f16_e32 v104, v31, v12
	v_fmac_f16_e32 v106, v35, v13
	;; [unrolled: 1-line block ×3, first 2 shown]
	v_fma_f16 v4, v4, v12, -v103
	v_fma_f16 v8, v8, v14, -v107
	;; [unrolled: 1-line block ×5, first 2 shown]
	v_fmac_f16_e32 v109, v43, v12
	v_fmac_f16_e32 v111, v86, v13
	;; [unrolled: 1-line block ×3, first 2 shown]
	v_fma_f16 v10, v10, v12, -v114
	v_fma_f16 v17, v17, v14, -v116
	;; [unrolled: 1-line block ×3, first 2 shown]
	v_fmac_f16_e32 v115, v92, v12
	v_fmac_f16_e32 v120, v93, v13
	;; [unrolled: 1-line block ×3, first 2 shown]
	v_fma_f16 v21, v21, v13, -v118
	v_fmac_f16_e32 v124, v96, v12
	v_fma_f16 v22, v22, v12, -v123
	v_fmac_f16_e32 v121, v97, v13
	;; [unrolled: 2-line block ×3, first 2 shown]
	v_fma_f16 v23, v23, v12, -v127
	v_fmac_f16_e64 v128, v100, v12
	v_fma_f16 v7, v7, v13, -v129
	v_fmac_f16_e64 v130, v101, v13
	;; [unrolled: 2-line block ×3, first 2 shown]
	v_sub_f16_e32 v5, v1, v5
	v_sub_f16_e32 v31, v11, v106
	;; [unrolled: 1-line block ×17, first 2 shown]
	v_sub_f16_e64 v94, v99, v130
	v_sub_f16_e32 v27, v23, v27
	v_sub_f16_e64 v96, v128, v132
	v_fma_f16 v1, v1, 2.0, -v5
	v_fma_f16 v11, v11, 2.0, -v31
	;; [unrolled: 1-line block ×20, first 2 shown]
	v_sub_f16_e32 v35, v5, v35
	v_add_f16_e32 v8, v31, v8
	v_sub_f16_e32 v4, v1, v4
	v_sub_f16_e32 v97, v11, v97
	v_sub_f16_e32 v43, v6, v43
	v_add_f16_e32 v16, v41, v16
	v_sub_f16_e32 v9, v2, v9
	v_sub_f16_e32 v98, v42, v98
	;; [unrolled: 4-line block ×5, first 2 shown]
	v_fma_f16 v5, v5, 2.0, -v35
	v_fma_f16 v31, v31, 2.0, -v8
	;; [unrolled: 1-line block ×6, first 2 shown]
	v_pack_b32_f16 v8, v35, v8
	v_fma_f16 v2, v2, 2.0, -v9
	v_fma_f16 v35, v42, 2.0, -v98
	;; [unrolled: 1-line block ×6, first 2 shown]
	v_pack_b32_f16 v4, v4, v97
	v_fma_f16 v21, v21, 2.0, -v93
	v_fma_f16 v92, v92, 2.0, -v26
	v_pack_b32_f16 v16, v43, v16
	v_fma_f16 v19, v19, 2.0, -v22
	v_fma_f16 v43, v95, 2.0, -v101
	;; [unrolled: 1-line block ×4, first 2 shown]
	v_pack_b32_f16 v17, v87, v17
	v_pack_b32_f16 v26, v93, v26
	;; [unrolled: 1-line block ×3, first 2 shown]
	v_fma_f16 v3, v3, 2.0, -v23
	v_fma_f16 v87, v99, 2.0, -v102
	v_pack_b32_f16 v9, v9, v98
	v_pack_b32_f16 v10, v10, v100
	;; [unrolled: 1-line block ×9, first 2 shown]
	ds_store_2addr_b32 v36, v4, v8 offset0:8 offset1:12
	v_pack_b32_f16 v4, v18, v42
	v_pack_b32_f16 v21, v21, v92
	;; [unrolled: 1-line block ×4, first 2 shown]
	ds_store_2addr_b32 v37, v9, v16 offset0:8 offset1:12
	ds_store_2addr_b32 v38, v10, v17 offset0:8 offset1:12
	;; [unrolled: 1-line block ×3, first 2 shown]
	v_pack_b32_f16 v3, v3, v87
	ds_store_2addr_b32 v40, v23, v27 offset0:8 offset1:12
	ds_store_2addr_b32 v36, v1, v5 offset1:4
	ds_store_2addr_b32 v37, v2, v6 offset1:4
	;; [unrolled: 1-line block ×5, first 2 shown]
	global_wb scope:SCOPE_SE
	s_wait_dscnt 0x0
	s_barrier_signal -1
	s_barrier_wait -1
	global_inv scope:SCOPE_SE
	global_load_b96 v[9:11], v[24:25], off offset:48
	v_and_or_b32 v1, 0x1c0, v52, v28
	v_and_or_b32 v7, 0x3c0, v29, v28
	;; [unrolled: 1-line block ×5, first 2 shown]
	v_lshlrev_b32_e32 v31, 2, v1
	ds_load_2addr_stride64_b32 v[1:2], v52 offset0:20 offset1:22
	ds_load_2addr_stride64_b32 v[3:4], v52 offset0:28 offset1:30
	ds_load_2addr_stride64_b32 v[5:6], v52 offset0:12 offset1:14
	v_lshlrev_b32_e32 v32, 2, v7
	ds_load_2addr_stride64_b32 v[7:8], v52 offset0:32 offset1:34
	v_lshlrev_b32_e32 v33, 2, v17
	ds_load_2addr_stride64_b32 v[17:18], v52 offset0:24 offset1:26
	;; [unrolled: 2-line block ×3, first 2 shown]
	ds_load_2addr_stride64_b32 v[23:24], v52 offset1:2
	ds_load_2addr_stride64_b32 v[25:26], v52 offset0:8 offset1:10
	ds_load_2addr_stride64_b32 v[27:28], v52 offset0:4 offset1:6
	;; [unrolled: 1-line block ×3, first 2 shown]
	v_and_b32_e32 v16, 63, v0
	v_lshlrev_b32_e32 v35, 2, v21
	global_wb scope:SCOPE_SE
	s_wait_loadcnt_dscnt 0x0
	s_barrier_signal -1
	s_barrier_wait -1
	v_mad_co_u64_u32 v[21:22], null, v16, 36, s[10:11]
	global_inv scope:SCOPE_SE
	v_lshrrev_b32_e32 v29, 16, v1
	v_lshrrev_b32_e32 v88, 16, v4
	;; [unrolled: 1-line block ×23, first 2 shown]
	s_delay_alu instid0(VALU_DEP_3) | instskip(SKIP_1) | instid1(VALU_DEP_4)
	v_mul_f16_e32 v110, v29, v43
	v_mul_f16_e32 v111, v1, v43
	;; [unrolled: 1-line block ×3, first 2 shown]
	v_mul_f16_e64 v132, v4, v42
	v_mul_f16_e64 v134, v26, v41
	;; [unrolled: 1-line block ×3, first 2 shown]
	v_mul_f16_e32 v113, v92, v41
	v_mul_f16_e32 v114, v5, v41
	;; [unrolled: 1-line block ×15, first 2 shown]
	v_mul_f16_e64 v128, v100, v41
	v_mul_f16_e64 v129, v18, v43
	;; [unrolled: 1-line block ×9, first 2 shown]
	v_fma_f16 v1, v1, v10, -v110
	v_fma_f16 v4, v4, v11, -v112
	v_fmac_f16_e32 v111, v29, v10
	v_fmac_f16_e64 v132, v88, v11
	v_fmac_f16_e64 v134, v103, v9
	v_fma_f16 v26, v26, v9, -v136
	v_fma_f16 v2, v2, v10, -v115
	;; [unrolled: 1-line block ×4, first 2 shown]
	v_fmac_f16_e32 v114, v92, v9
	v_fmac_f16_e32 v116, v93, v10
	;; [unrolled: 1-line block ×3, first 2 shown]
	v_fma_f16 v6, v6, v9, -v119
	v_fma_f16 v8, v8, v11, -v123
	;; [unrolled: 1-line block ×3, first 2 shown]
	v_fmac_f16_e32 v120, v95, v9
	v_fmac_f16_e32 v122, v96, v10
	;; [unrolled: 1-line block ×3, first 2 shown]
	v_fma_f16 v18, v18, v10, -v126
	v_fma_f16 v19, v19, v9, -v125
	;; [unrolled: 1-line block ×4, first 2 shown]
	v_fmac_f16_e32 v127, v98, v9
	v_fmac_f16_e64 v129, v99, v10
	v_fmac_f16_e64 v135, v107, v11
	v_fmac_f16_e64 v131, v100, v9
	v_fma_f16 v29, v86, v11, -v137
	v_fmac_f16_e64 v133, v101, v10
	v_fma_f16 v86, v87, v11, -v138
	v_fmac_f16_e64 v139, v109, v11
	v_sub_f16_e32 v1, v23, v1
	v_sub_f16_e32 v87, v102, v111
	;; [unrolled: 1-line block ×3, first 2 shown]
	v_sub_f16_e64 v88, v134, v132
	v_sub_f16_e32 v2, v24, v2
	v_sub_f16_e32 v92, v104, v116
	;; [unrolled: 1-line block ×9, first 2 shown]
	v_sub_f16_e64 v96, v106, v129
	v_sub_f16_e32 v29, v19, v29
	v_sub_f16_e64 v97, v127, v135
	v_sub_f16_e32 v3, v25, v3
	;; [unrolled: 2-line block ×3, first 2 shown]
	v_sub_f16_e64 v99, v131, v139
	v_fma_f16 v23, v23, 2.0, -v1
	v_fma_f16 v100, v102, 2.0, -v87
	;; [unrolled: 1-line block ×20, first 2 shown]
	v_sub_f16_e32 v88, v1, v88
	v_add_f16_e32 v4, v87, v4
	v_sub_f16_e32 v26, v23, v26
	v_sub_f16_e32 v101, v100, v101
	v_sub_f16_e32 v93, v2, v93
	v_add_f16_e32 v7, v92, v7
	v_sub_f16_e32 v5, v24, v5
	v_sub_f16_e32 v103, v102, v103
	;; [unrolled: 4-line block ×3, first 2 shown]
	v_sub_f16_e32 v97, v18, v97
	v_add_f16_e32 v29, v96, v29
	v_sub_f16_e32 v99, v3, v99
	v_add_f16_e32 v86, v98, v86
	v_sub_f16_e32 v19, v28, v19
	v_sub_f16_e32 v107, v106, v107
	;; [unrolled: 1-line block ×4, first 2 shown]
	v_fma_f16 v1, v1, 2.0, -v88
	v_fma_f16 v87, v87, 2.0, -v4
	v_pack_b32_f16 v4, v88, v4
	v_fma_f16 v23, v23, 2.0, -v26
	v_fma_f16 v88, v100, 2.0, -v101
	;; [unrolled: 1-line block ×4, first 2 shown]
	v_pack_b32_f16 v7, v93, v7
	v_fma_f16 v24, v24, 2.0, -v5
	v_fma_f16 v93, v102, 2.0, -v103
	v_pack_b32_f16 v26, v26, v101
	v_fma_f16 v17, v17, 2.0, -v95
	v_fma_f16 v94, v94, 2.0, -v8
	;; [unrolled: 3-line block ×4, first 2 shown]
	v_fma_f16 v3, v3, 2.0, -v99
	v_fma_f16 v98, v98, 2.0, -v86
	v_pack_b32_f16 v29, v97, v29
	v_pack_b32_f16 v86, v99, v86
	v_fma_f16 v28, v28, 2.0, -v19
	v_fma_f16 v97, v106, 2.0, -v107
	;; [unrolled: 1-line block ×4, first 2 shown]
	v_pack_b32_f16 v6, v6, v105
	v_pack_b32_f16 v19, v19, v107
	;; [unrolled: 1-line block ×6, first 2 shown]
	ds_store_2addr_b32 v31, v26, v4 offset0:32 offset1:48
	v_pack_b32_f16 v4, v24, v93
	v_pack_b32_f16 v17, v17, v94
	ds_store_2addr_b32 v32, v5, v7 offset0:32 offset1:48
	v_pack_b32_f16 v5, v27, v95
	v_pack_b32_f16 v18, v18, v96
	;; [unrolled: 1-line block ×3, first 2 shown]
	ds_store_2addr_b32 v33, v6, v8 offset0:32 offset1:48
	v_pack_b32_f16 v6, v28, v97
	v_pack_b32_f16 v7, v25, v99
	ds_store_2addr_b32 v34, v19, v29 offset0:32 offset1:48
	ds_store_2addr_b32 v35, v20, v86 offset0:32 offset1:48
	ds_store_2addr_b32 v31, v23, v1 offset1:16
	ds_store_2addr_b32 v32, v4, v2 offset1:16
	;; [unrolled: 1-line block ×5, first 2 shown]
	global_wb scope:SCOPE_SE
	s_wait_dscnt 0x0
	s_barrier_signal -1
	s_barrier_wait -1
	global_inv scope:SCOPE_SE
	s_clause 0x2
	global_load_b128 v[1:4], v[21:22], off offset:240
	global_load_b128 v[5:8], v[21:22], off offset:256
	global_load_b32 v86, v[21:22], off offset:272
	v_lshrrev_b32_e32 v17, 6, v0
	v_or_b32_e32 v26, v15, v16
	v_mad_co_u64_u32 v[27:28], null, v0, 12, s[10:11]
	s_load_b64 s[10:11], s[0:1], 0x38
	s_delay_alu instid0(VALU_DEP_3) | instskip(NEXT) | instid1(VALU_DEP_3)
	v_mul_u32_u24_e32 v17, 0x280, v17
	v_lshlrev_b32_e32 v87, 2, v26
	s_delay_alu instid0(VALU_DEP_2)
	v_or_b32_e32 v25, v17, v16
	ds_load_2addr_stride64_b32 v[23:24], v52 offset0:4 offset1:6
	ds_load_2addr_stride64_b32 v[21:22], v52 offset0:8 offset1:10
	;; [unrolled: 1-line block ×5, first 2 shown]
	v_lshlrev_b32_e32 v88, 2, v25
	ds_load_2addr_stride64_b32 v[25:26], v52 offset0:24 offset1:26
	ds_load_2addr_stride64_b32 v[101:102], v52 offset0:28 offset1:30
	;; [unrolled: 1-line block ×4, first 2 shown]
	ds_load_2addr_stride64_b32 v[107:108], v52 offset1:2
	global_wb scope:SCOPE_SE
	s_wait_loadcnt_dscnt 0x0
	s_wait_kmcnt 0x0
	s_barrier_signal -1
	s_barrier_wait -1
	global_inv scope:SCOPE_SE
	v_lshrrev_b32_e32 v29, 16, v23
	v_lshrrev_b32_e32 v109, 16, v21
	;; [unrolled: 1-line block ×29, first 2 shown]
	v_mul_f16_e64 v128, v29, v100
	v_mul_f16_e64 v129, v23, v100
	;; [unrolled: 1-line block ×13, first 2 shown]
	v_fma_f16 v23, v23, v1, -v128
	v_mul_f16_e64 v128, v106, v92
	v_mul_f16_e64 v131, v21, v99
	;; [unrolled: 1-line block ×21, first 2 shown]
	v_fma_f16 v21, v21, v2, -v130
	v_fma_f16 v20, v20, v3, -v140
	;; [unrolled: 1-line block ×8, first 2 shown]
	v_fmac_f16_e64 v143, v115, v3
	v_fmac_f16_e64 v147, v117, v5
	;; [unrolled: 1-line block ×4, first 2 shown]
	v_mul_f16_e64 v141, v22, v99
	v_fma_f16 v22, v22, v2, -v138
	v_fma_f16 v18, v18, v4, -v142
	v_fma_f16 v26, v26, v6, -v149
	v_fma_f16 v104, v104, v8, -v157
	v_fmac_f16_e64 v131, v109, v2
	v_fmac_f16_e64 v136, v111, v4
	;; [unrolled: 1-line block ×4, first 2 shown]
	v_mul_f16_e64 v135, v113, v100
	v_fma_f16 v19, v19, v3, -v132
	v_fma_f16 v15, v15, v5, -v137
	;; [unrolled: 1-line block ×4, first 2 shown]
	v_fmac_f16_e64 v133, v110, v3
	v_fmac_f16_e64 v146, v112, v5
	;; [unrolled: 1-line block ×8, first 2 shown]
	v_sub_f16_e32 v116, v16, v20
	v_sub_f16_e32 v117, v102, v106
	v_add_f16_e64 v118, v147, v155
	v_add_f16_e64 v119, v143, v128
	v_sub_f16_e64 v121, v147, v143
	v_sub_f16_e64 v122, v155, v128
	v_sub_f16_e32 v123, v21, v17
	v_sub_f16_e32 v124, v103, v25
	v_fmac_f16_e64 v129, v29, v1
	v_fmac_f16_e64 v141, v114, v2
	v_add_f16_e32 v29, v18, v26
	v_add_f16_e32 v109, v22, v104
	v_sub_f16_e32 v111, v18, v22
	v_sub_f16_e32 v112, v26, v104
	;; [unrolled: 1-line block ×3, first 2 shown]
	v_sub_f16_e64 v130, v25, v103
	v_sub_f16_e64 v132, v131, v136
	;; [unrolled: 1-line block ×3, first 2 shown]
	v_fma_f16 v24, v24, v1, -v135
	v_add_f16_e64 v120, v139, v143
	v_add_f16_e64 v135, v136, v150
	;; [unrolled: 1-line block ×3, first 2 shown]
	v_sub_f16_e64 v140, v136, v131
	v_sub_f16_e64 v142, v150, v158
	;; [unrolled: 1-line block ×4, first 2 shown]
	v_add_f16_e32 v116, v116, v117
	v_sub_f16_e64 v117, v146, v133
	v_fma_f16 v118, -0.5, v118, v139
	v_fmac_f16_e64 v139, -0.5, v119
	v_sub_f16_e64 v119, v154, v162
	v_add_f16_e32 v121, v121, v122
	v_sub_f16_e32 v122, v22, v18
	v_add_f16_e32 v123, v123, v124
	v_sub_f16_e32 v124, v104, v26
	v_add_f16_e32 v110, v108, v22
	v_add_f16_e32 v113, v16, v102
	;; [unrolled: 1-line block ×3, first 2 shown]
	v_add_f16_e64 v149, v15, v101
	v_add_f16_e64 v152, v19, v105
	v_sub_f16_e64 v156, v15, v19
	v_sub_f16_e64 v157, v101, v105
	;; [unrolled: 1-line block ×4, first 2 shown]
	v_fma_f16 v29, -0.5, v29, v108
	v_fmac_f16_e32 v108, -0.5, v109
	v_add_f16_e64 v109, v146, v154
	v_add_f16_e32 v111, v111, v112
	v_add_f16_e64 v112, v133, v162
	v_add_f16_e64 v125, v125, v130
	v_sub_f16_e64 v130, v141, v145
	v_add_f16_e64 v132, v132, v134
	v_sub_f16_e64 v134, v159, v151
	v_add_f16_e64 v138, v127, v131
	v_add_f16_e64 v153, v23, v19
	v_fma_f16 v135, -0.5, v135, v127
	v_fmac_f16_e64 v127, -0.5, v137
	v_add_f16_e64 v137, v145, v151
	v_add_f16_e64 v140, v140, v142
	;; [unrolled: 1-line block ×5, first 2 shown]
	v_add_f16_e32 v117, v117, v119
	v_sub_f16_e64 v119, v143, v147
	v_add_f16_e32 v122, v122, v124
	v_sub_f16_e64 v124, v128, v155
	v_add_f16_e32 v115, v24, v20
	v_fma_f16 v113, -0.5, v113, v24
	v_fmac_f16_e32 v24, -0.5, v114
	v_add_f16_e64 v114, v129, v133
	v_fma_f16 v149, -0.5, v149, v23
	v_fmac_f16_e64 v23, -0.5, v152
	v_sub_f16_e64 v152, v145, v141
	v_add_f16_e64 v156, v156, v157
	v_sub_f16_e64 v157, v151, v159
	v_add_f16_e64 v160, v160, v161
	v_sub_f16_e64 v161, v20, v16
	v_fma_f16 v109, -0.5, v109, v129
	v_fmac_f16_e64 v129, -0.5, v112
	v_sub_f16_e32 v112, v106, v102
	v_add_f16_e64 v130, v130, v134
	v_add_f16_e64 v134, v107, v21
	v_fma_f16 v137, -0.5, v137, v126
	v_fmac_f16_e64 v126, -0.5, v142
	v_add_f16_e64 v142, v17, v25
	v_add_f16_e32 v119, v119, v124
	v_sub_f16_e32 v124, v15, v101
	v_add_f16_e64 v15, v153, v15
	v_sub_f16_e64 v153, v145, v151
	v_add_f16_e64 v145, v148, v145
	v_add_f16_e64 v148, v21, v103
	;; [unrolled: 1-line block ×3, first 2 shown]
	v_sub_f16_e64 v157, v17, v25
	v_add_f16_e64 v112, v161, v112
	v_sub_f16_e64 v161, v136, v150
	v_add_f16_e64 v17, v134, v17
	v_add_f16_e64 v136, v138, v136
	v_sub_f16_e64 v134, v146, v154
	v_add_f16_e64 v114, v114, v146
	v_sub_f16_e64 v146, v16, v102
	v_sub_f16_e32 v21, v21, v103
	v_add_f16_e32 v16, v115, v16
	v_add_f16_e64 v115, v120, v147
	v_fma_f16 v120, -0.5, v142, v107
	v_fma_f16 v107, -0.5, v148, v107
	v_sub_f16_e64 v138, v18, v26
	v_add_f16_e32 v18, v110, v18
	v_sub_f16_e32 v19, v19, v105
	v_sub_f16_e64 v133, v133, v162
	v_sub_f16_e64 v110, v147, v155
	v_add_f16_e32 v17, v17, v25
	v_add_f16_e64 v25, v136, v150
	v_sub_f16_e64 v131, v131, v158
	v_sub_f16_e32 v20, v20, v106
	v_sub_f16_e64 v143, v143, v128
	v_add_f16_e32 v16, v16, v102
	v_add_f16_e64 v102, v115, v155
	v_fma_f16 v115, 0xbb9c, v161, v107
	v_fmac_f16_e64 v107, 0x3b9c, v161
	v_fma_f16 v136, 0xbb9c, v21, v135
	v_fmac_f16_e64 v135, 0x3b9c, v21
	;; [unrolled: 2-line block ×3, first 2 shown]
	v_sub_f16_e32 v22, v22, v104
	v_add_f16_e32 v15, v15, v101
	v_add_f16_e64 v101, v114, v154
	v_add_f16_e32 v18, v18, v26
	v_add_f16_e64 v26, v145, v151
	v_fma_f16 v145, 0x3b9c, v133, v149
	v_fma_f16 v148, 0xbb9c, v19, v109
	;; [unrolled: 1-line block ×3, first 2 shown]
	v_fmac_f16_e64 v129, 0xbb9c, v124
	v_fma_f16 v155, 0x3b9c, v138, v126
	v_fmac_f16_e64 v126, 0xbb9c, v138
	v_fma_f16 v147, 0xbb9c, v134, v23
	v_fmac_f16_e64 v23, 0x3b9c, v134
	v_add_f16_e64 v25, v25, v158
	v_fma_f16 v158, 0xbb9c, v110, v24
	v_fmac_f16_e32 v24, 0x3b9c, v110
	v_fmac_f16_e64 v149, 0xbb9c, v133
	v_fmac_f16_e32 v109, 0x3b9c, v19
	v_fma_f16 v114, 0x3b9c, v131, v120
	v_fmac_f16_e64 v120, 0xbb9c, v131
	v_fmac_f16_e64 v115, 0x38b4, v131
	;; [unrolled: 1-line block ×3, first 2 shown]
	v_fma_f16 v131, 0x3b9c, v143, v113
	v_fmac_f16_e64 v113, 0xbb9c, v143
	v_fmac_f16_e64 v136, 0xb8b4, v157
	;; [unrolled: 1-line block ×3, first 2 shown]
	v_fma_f16 v157, 0xbb9c, v20, v118
	v_fmac_f16_e32 v118, 0x3b9c, v20
	v_fmac_f16_e64 v142, 0xb8b4, v21
	v_fmac_f16_e32 v127, 0x38b4, v21
	v_fma_f16 v21, 0x3b9c, v146, v139
	v_fmac_f16_e64 v139, 0xbb9c, v146
	v_add_f16_e32 v17, v17, v103
	v_fma_f16 v103, 0xbb9c, v22, v137
	v_fmac_f16_e64 v137, 0x3b9c, v22
	v_add_f16_e32 v15, v15, v105
	v_fmac_f16_e64 v145, 0x38b4, v134
	v_add_f16_e64 v101, v101, v162
	v_fmac_f16_e64 v148, 0xb8b4, v124
	v_fmac_f16_e64 v150, 0xb8b4, v19
	;; [unrolled: 1-line block ×3, first 2 shown]
	v_add_f16_e32 v18, v18, v104
	v_add_f16_e64 v19, v26, v159
	v_fmac_f16_e64 v155, 0xb8b4, v22
	v_fmac_f16_e32 v126, 0x38b4, v22
	v_add_f16_e32 v16, v16, v106
	v_add_f16_e64 v22, v102, v128
	v_fmac_f16_e64 v147, 0x38b4, v133
	v_fmac_f16_e64 v23, 0xb8b4, v133
	;; [unrolled: 1-line block ×4, first 2 shown]
	v_fmac_f16_e32 v109, 0x38b4, v124
	v_sub_f16_e64 v141, v141, v159
	v_fmac_f16_e32 v113, 0xb8b4, v110
	v_fmac_f16_e64 v118, 0x38b4, v146
	v_fmac_f16_e64 v139, 0x38b4, v20
	v_fma_f16 v154, 0xbb9c, v153, v108
	v_fmac_f16_e64 v108, 0x3b9c, v153
	v_fmac_f16_e64 v131, 0x38b4, v110
	v_fmac_f16_e64 v158, 0x38b4, v143
	v_fmac_f16_e64 v157, 0xb8b4, v146
	v_fmac_f16_e32 v21, 0xb8b4, v20
	v_fmac_f16_e64 v145, 0x34f2, v144
	v_fmac_f16_e64 v148, 0x34f2, v160
	v_add_f16_e32 v20, v17, v15
	v_sub_f16_e32 v15, v17, v15
	v_add_f16_e32 v17, v25, v101
	v_add_f16_e32 v26, v18, v16
	v_sub_f16_e32 v16, v18, v16
	v_add_f16_e32 v18, v19, v22
	v_sub_f16_e32 v19, v19, v22
	v_fmac_f16_e64 v147, 0x34f2, v156
	v_fmac_f16_e64 v23, 0x34f2, v156
	;; [unrolled: 1-line block ×4, first 2 shown]
	v_sub_f16_e32 v25, v25, v101
	v_fmac_f16_e32 v24, 0x34f2, v116
	v_fmac_f16_e64 v149, 0x34f2, v144
	v_fmac_f16_e64 v109, 0x34f2, v160
	v_fma_f16 v151, 0x3b9c, v141, v29
	v_fmac_f16_e64 v29, 0xbb9c, v141
	v_fmac_f16_e32 v113, 0x34f2, v112
	v_fmac_f16_e64 v139, 0x34f2, v121
	v_fmac_f16_e32 v118, 0x34f2, v119
	v_fmac_f16_e64 v114, 0x38b4, v161
	v_fmac_f16_e64 v108, 0xb8b4, v141
	;; [unrolled: 1-line block ×6, first 2 shown]
	v_fmac_f16_e32 v21, 0x34f2, v121
	v_pack_b32_f16 v17, v20, v17
	v_pack_b32_f16 v16, v16, v19
	v_mul_f16_e64 v19, 0x38b4, v148
	v_mul_f16_e64 v20, 0xb8b4, v145
	v_mul_f16_e32 v22, 0xb4f2, v24
	v_pack_b32_f16 v15, v15, v25
	v_pack_b32_f16 v18, v26, v18
	v_mul_f16_e64 v25, 0x3b9c, v150
	v_mul_f16_e64 v26, 0xbb9c, v147
	v_mul_f16_e32 v101, 0xb4f2, v23
	v_mul_f16_e64 v102, 0xb4f2, v129
	v_fmac_f16_e64 v120, 0xb8b4, v161
	v_mul_f16_e64 v104, 0xba79, v149
	v_mul_f16_e32 v105, 0xba79, v109
	v_fmac_f16_e64 v29, 0xb8b4, v153
	v_fmac_f16_e64 v137, 0x38b4, v138
	v_mul_f16_e64 v116, 0xb4f2, v139
	v_mul_f16_e32 v117, 0xba79, v113
	v_mul_f16_e32 v119, 0xba79, v118
	v_fmac_f16_e64 v151, 0x38b4, v153
	v_fmac_f16_e64 v103, 0xb8b4, v138
	v_fmac_f16_e32 v114, 0x34f2, v123
	v_fmac_f16_e64 v136, 0x34f2, v132
	v_fmac_f16_e32 v108, 0x34f2, v111
	v_fmac_f16_e64 v154, 0x34f2, v111
	v_mul_f16_e64 v106, 0x38b4, v157
	v_mul_f16_e64 v110, 0xb8b4, v131
	v_mul_f16_e32 v111, 0x3b9c, v21
	v_mul_f16_e64 v112, 0xbb9c, v158
	v_fmac_f16_e64 v19, 0x3a79, v145
	v_fmac_f16_e64 v20, 0x3a79, v148
	v_fmac_f16_e32 v115, 0x34f2, v125
	v_fmac_f16_e32 v107, 0x34f2, v125
	v_fmac_f16_e64 v142, 0x34f2, v140
	v_fmac_f16_e64 v127, 0x34f2, v140
	;; [unrolled: 1-line block ×5, first 2 shown]
	v_fmac_f16_e32 v102, 0xbb9c, v23
	v_fmac_f16_e64 v22, 0x3b9c, v139
	v_fmac_f16_e32 v120, 0x34f2, v123
	v_fmac_f16_e64 v135, 0x34f2, v132
	;; [unrolled: 2-line block ×4, first 2 shown]
	v_fmac_f16_e64 v126, 0x34f2, v152
	v_fmac_f16_e32 v116, 0xbb9c, v24
	v_fmac_f16_e32 v117, 0x38b4, v118
	;; [unrolled: 1-line block ×3, first 2 shown]
	v_fmac_f16_e64 v151, 0x34f2, v122
	v_fmac_f16_e64 v103, 0x34f2, v130
	;; [unrolled: 1-line block ×6, first 2 shown]
	v_fmac_f16_e32 v112, 0x34f2, v21
	v_add_f16_e32 v23, v114, v19
	v_add_f16_e64 v109, v136, v20
	v_add_f16_e32 v21, v108, v22
	v_sub_f16_e32 v22, v108, v22
	v_sub_f16_e32 v19, v114, v19
	v_add_f16_e32 v24, v115, v25
	v_add_f16_e32 v108, v107, v101
	v_add_f16_e64 v113, v142, v26
	v_add_f16_e32 v114, v127, v102
	v_sub_f16_e32 v25, v115, v25
	v_sub_f16_e32 v101, v107, v101
	v_add_f16_e32 v107, v120, v104
	v_add_f16_e64 v115, v135, v105
	v_sub_f16_e64 v20, v136, v20
	v_sub_f16_e64 v26, v142, v26
	v_sub_f16_e32 v104, v120, v104
	v_sub_f16_e32 v102, v127, v102
	v_sub_f16_e64 v105, v135, v105
	v_add_f16_e32 v121, v29, v117
	v_sub_f16_e32 v29, v29, v117
	v_add_f16_e32 v122, v126, v116
	v_sub_f16_e32 v116, v126, v116
	v_add_f16_e64 v123, v137, v119
	v_sub_f16_e64 v119, v137, v119
	v_add_f16_e64 v118, v151, v106
	v_sub_f16_e64 v106, v151, v106
	;; [unrolled: 2-line block ×3, first 2 shown]
	v_add_f16_e32 v117, v103, v110
	v_sub_f16_e32 v103, v103, v110
	v_add_f16_e64 v110, v155, v112
	v_sub_f16_e64 v112, v155, v112
	v_pack_b32_f16 v23, v23, v109
	v_pack_b32_f16 v24, v24, v113
	;; [unrolled: 1-line block ×16, first 2 shown]
	ds_store_2addr_stride64_b32 v88, v17, v23 offset1:1
	ds_store_2addr_stride64_b32 v88, v24, v108 offset0:2 offset1:3
	ds_store_2addr_stride64_b32 v88, v107, v15 offset0:4 offset1:5
	ds_store_2addr_stride64_b32 v88, v19, v20 offset0:6 offset1:7
	ds_store_2addr_stride64_b32 v88, v25, v26 offset0:8 offset1:9
	ds_store_2addr_stride64_b32 v87, v18, v101 offset1:1
	ds_store_2addr_stride64_b32 v87, v102, v21 offset0:2 offset1:3
	ds_store_2addr_stride64_b32 v87, v104, v16 offset0:4 offset1:5
	;; [unrolled: 1-line block ×4, first 2 shown]
	global_wb scope:SCOPE_SE
	s_wait_dscnt 0x0
	s_barrier_signal -1
	s_barrier_wait -1
	global_inv scope:SCOPE_SE
	s_clause 0x4
	global_load_b96 v[18:20], v[27:28], off offset:4080
	global_load_b96 v[21:23], v[27:28], off offset:5616
	;; [unrolled: 1-line block ×5, first 2 shown]
	ds_load_2addr_stride64_b32 v[114:115], v52 offset0:12 offset1:14
	ds_load_2addr_stride64_b32 v[116:117], v52 offset0:32 offset1:34
	;; [unrolled: 1-line block ×4, first 2 shown]
	ds_load_2addr_stride64_b32 v[122:123], v52 offset1:2
	ds_load_2addr_stride64_b32 v[124:125], v52 offset0:4 offset1:6
	ds_load_2addr_stride64_b32 v[126:127], v52 offset0:16 offset1:18
	;; [unrolled: 1-line block ×5, first 2 shown]
	s_wait_dscnt 0x9
	v_lshrrev_b32_e32 v112, 16, v114
	s_wait_dscnt 0x8
	v_lshrrev_b32_e32 v134, 16, v116
	v_lshrrev_b32_e32 v135, 16, v115
	s_wait_dscnt 0x6
	v_lshrrev_b32_e32 v138, 16, v120
	v_lshrrev_b32_e32 v141, 16, v121
	v_lshrrev_b32_e32 v136, 16, v117
	s_wait_dscnt 0x3
	v_lshrrev_b32_e32 v142, 16, v126
	;; [unrolled: 4-line block ×4, first 2 shown]
	v_lshrrev_b32_e32 v146, 16, v130
	v_lshrrev_b32_e32 v139, 16, v123
	v_lshrrev_b32_e32 v140, 16, v124
	v_lshrrev_b32_e32 v165, 16, v122
	v_lshrrev_b32_e32 v147, 16, v125
	s_wait_dscnt 0x0
	v_lshrrev_b32_e32 v148, 16, v132
	s_wait_loadcnt 0x4
	v_lshrrev_b32_e32 v111, 16, v18
	s_wait_loadcnt 0x3
	v_lshrrev_b32_e32 v108, 16, v21
	v_lshrrev_b32_e32 v109, 16, v20
	;; [unrolled: 1-line block ×3, first 2 shown]
	s_wait_loadcnt 0x2
	v_lshrrev_b32_e32 v104, 16, v16
	v_lshrrev_b32_e32 v105, 16, v15
	v_mul_f16_e64 v150, v112, v111
	v_lshrrev_b32_e32 v106, 16, v23
	v_lshrrev_b32_e32 v110, 16, v19
	s_wait_loadcnt 0x1
	v_lshrrev_b32_e32 v102, 16, v24
	v_lshrrev_b32_e32 v103, 16, v17
	;; [unrolled: 1-line block ×3, first 2 shown]
	s_wait_loadcnt 0x0
	v_lshrrev_b32_e32 v113, 16, v28
	v_mul_f16_e64 v151, v114, v111
	v_mul_f16_e64 v152, v135, v108
	;; [unrolled: 1-line block ×5, first 2 shown]
	v_fma_f16 v150, v114, v18, -v150
	v_mul_f16_e64 v114, v142, v105
	v_mul_f16_e64 v154, v116, v109
	;; [unrolled: 1-line block ×7, first 2 shown]
	v_fma_f16 v152, v115, v21, -v152
	v_mul_f16_e64 v115, v143, v102
	v_fma_f16 v116, v116, v20, -v153
	v_mul_f16_e64 v153, v126, v105
	v_fma_f16 v120, v120, v22, -v160
	v_fma_f16 v121, v121, v16, -v161
	v_mul_f16_e64 v160, v144, v103
	v_mul_f16_e64 v161, v145, v101
	v_fma_f16 v126, v126, v15, -v114
	v_mul_f16_e64 v114, v149, v113
	v_mul_f16_e64 v157, v117, v106
	v_fma_f16 v117, v117, v23, -v155
	v_mul_f16_e64 v155, v127, v102
	v_fma_f16 v127, v127, v24, -v115
	;; [unrolled: 2-line block ×3, first 2 shown]
	v_fma_f16 v160, v129, v26, -v161
	v_mul_f16_e64 v161, v119, v110
	v_fma_f16 v119, v119, v19, -v158
	v_fma_f16 v158, v118, v28, -v114
	v_fmac_f16_e64 v154, v134, v20
	v_lshrrev_b32_e32 v134, 16, v133
	v_lshrrev_b32_e32 v114, 16, v29
	;; [unrolled: 1-line block ×3, first 2 shown]
	v_fmac_f16_e64 v151, v112, v18
	v_lshrrev_b32_e32 v112, 16, v25
	v_mul_f16_e32 v118, v118, v113
	v_fmac_f16_e64 v161, v137, v19
	v_fmac_f16_e64 v159, v138, v22
	;; [unrolled: 1-line block ×4, first 2 shown]
	v_mul_f16_e64 v137, v164, v114
	v_mul_f16_e64 v138, v131, v114
	;; [unrolled: 1-line block ×5, first 2 shown]
	v_fmac_f16_e64 v156, v135, v21
	v_fmac_f16_e64 v157, v136, v23
	v_mul_f16_e64 v135, v130, v112
	v_mul_f16_e64 v136, v146, v112
	v_fma_f16 v131, v131, v29, -v137
	v_fmac_f16_e64 v118, v149, v28
	v_fmac_f16_e64 v138, v164, v29
	;; [unrolled: 1-line block ×3, first 2 shown]
	v_fma_f16 v133, v133, v27, -v142
	v_fmac_f16_e64 v163, v144, v17
	v_fmac_f16_e64 v155, v143, v24
	;; [unrolled: 1-line block ×4, first 2 shown]
	v_fma_f16 v130, v130, v25, -v136
	v_sub_f16_e32 v119, v123, v119
	v_sub_f16_e64 v134, v139, v161
	v_sub_f16_e64 v116, v150, v116
	;; [unrolled: 1-line block ×3, first 2 shown]
	v_sub_f16_e32 v120, v124, v120
	v_sub_f16_e64 v137, v140, v159
	v_sub_f16_e64 v142, v156, v157
	v_sub_f16_e64 v117, v152, v117
	v_sub_f16_e64 v146, v122, v158
	v_sub_f16_e64 v118, v165, v118
	v_sub_f16_e64 v131, v133, v131
	v_sub_f16_e64 v138, v141, v138
	v_sub_f16_e32 v121, v125, v121
	v_sub_f16_e64 v143, v147, v162
	v_sub_f16_e64 v128, v126, v128
	;; [unrolled: 1-line block ×8, first 2 shown]
	v_add_f16_e64 v154, v134, v116
	v_sub_f16_e64 v157, v120, v142
	v_add_f16_e64 v158, v137, v117
	v_fma_f16 v122, v122, 2.0, -v146
	v_fma_f16 v123, v123, 2.0, -v119
	v_fma_f16 v116, v150, 2.0, -v116
	v_fma_f16 v136, v151, 2.0, -v136
	v_fma_f16 v161, v165, 2.0, -v118
	v_fma_f16 v133, v133, 2.0, -v131
	v_fma_f16 v141, v141, 2.0, -v138
	v_fma_f16 v139, v139, 2.0, -v134
	v_sub_f16_e64 v159, v121, v144
	v_add_f16_e64 v160, v143, v128
	v_sub_f16_e64 v150, v130, v129
	v_add_f16_e64 v151, v135, v145
	v_fma_f16 v140, v140, 2.0, -v137
	v_fma_f16 v117, v152, 2.0, -v117
	;; [unrolled: 1-line block ×12, first 2 shown]
	v_sub_f16_e64 v138, v146, v138
	v_add_f16_e64 v131, v118, v131
	v_pack_b32_f16 v147, v149, v154
	v_pack_b32_f16 v148, v157, v158
	v_sub_f16_e64 v133, v122, v133
	v_sub_f16_e64 v141, v161, v141
	v_sub_f16_e32 v116, v123, v116
	v_sub_f16_e64 v136, v139, v136
	v_pack_b32_f16 v152, v159, v160
	v_pack_b32_f16 v153, v150, v151
	v_fma_f16 v119, v119, 2.0, -v149
	v_fma_f16 v134, v134, 2.0, -v154
	;; [unrolled: 1-line block ×4, first 2 shown]
	v_sub_f16_e32 v117, v124, v117
	v_sub_f16_e64 v142, v140, v142
	v_sub_f16_e32 v126, v125, v126
	v_sub_f16_e64 v128, v144, v128
	v_sub_f16_e64 v127, v132, v127
	;; [unrolled: 1-line block ×3, first 2 shown]
	v_fma_f16 v121, v121, 2.0, -v159
	v_fma_f16 v143, v143, 2.0, -v160
	;; [unrolled: 1-line block ×5, first 2 shown]
	v_pack_b32_f16 v138, v138, v131
	v_fma_f16 v118, v118, 2.0, -v131
	ds_store_2addr_stride64_b32 v52, v147, v148 offset0:32 offset1:34
	ds_store_2addr_stride64_b32 v52, v152, v153 offset0:36 offset1:38
	v_pack_b32_f16 v131, v133, v141
	v_pack_b32_f16 v147, v116, v136
	v_fma_f16 v122, v122, 2.0, -v133
	v_fma_f16 v133, v161, 2.0, -v141
	v_fma_f16 v116, v123, 2.0, -v116
	v_fma_f16 v123, v139, 2.0, -v136
	v_pack_b32_f16 v119, v119, v134
	v_pack_b32_f16 v120, v120, v137
	;; [unrolled: 1-line block ×4, first 2 shown]
	v_fma_f16 v117, v124, 2.0, -v117
	v_fma_f16 v124, v140, 2.0, -v142
	;; [unrolled: 1-line block ×5, first 2 shown]
	v_pack_b32_f16 v127, v127, v129
	v_fma_f16 v129, v145, 2.0, -v129
	v_pack_b32_f16 v121, v121, v143
	v_pack_b32_f16 v130, v130, v135
	ds_store_2addr_stride64_b32 v52, v131, v147 offset0:20 offset1:22
	ds_store_2addr_stride64_b32 v52, v119, v120 offset0:12 offset1:14
	;; [unrolled: 1-line block ×3, first 2 shown]
	v_pack_b32_f16 v119, v122, v133
	v_pack_b32_f16 v116, v116, v123
	;; [unrolled: 1-line block ×6, first 2 shown]
	ds_store_2addr_stride64_b32 v52, v121, v130 offset0:16 offset1:18
	ds_store_2addr_stride64_b32 v52, v127, v138 offset0:28 offset1:30
	ds_store_2addr_stride64_b32 v52, v119, v116 offset1:2
	ds_store_2addr_stride64_b32 v52, v117, v120 offset0:4 offset1:6
	ds_store_2addr_stride64_b32 v52, v122, v118 offset0:8 offset1:10
	global_wb scope:SCOPE_SE
	s_wait_dscnt 0x0
	s_barrier_signal -1
	s_barrier_wait -1
	global_inv scope:SCOPE_SE
	global_load_b32 v136, v52, s[8:9] offset:10240
	s_add_nc_u64 s[8:9], s[8:9], 0x2800
	s_clause 0x12
	global_load_b32 v137, v52, s[8:9] offset:512
	global_load_b32 v138, v52, s[8:9] offset:5120
	;; [unrolled: 1-line block ×19, first 2 shown]
	ds_load_2addr_stride64_b32 v[116:117], v52 offset1:2
	ds_load_2addr_stride64_b32 v[118:119], v52 offset0:20 offset1:22
	ds_load_2addr_stride64_b32 v[120:121], v52 offset0:12 offset1:14
	;; [unrolled: 1-line block ×9, first 2 shown]
	s_mov_b32 s8, 0x9999999a
	s_mov_b32 s9, 0x3f399999
	s_wait_dscnt 0x9
	v_lshrrev_b32_e32 v157, 16, v116
	v_lshrrev_b32_e32 v158, 16, v117
	s_wait_dscnt 0x8
	v_lshrrev_b32_e32 v161, 16, v118
	s_wait_loadcnt 0x12
	v_lshrrev_b32_e32 v159, 16, v137
	s_delay_alu instid0(VALU_DEP_1) | instskip(SKIP_1) | instid1(VALU_DEP_1)
	v_mul_f16_e64 v162, v158, v159
	v_lshrrev_b32_e32 v156, 16, v136
	v_mul_f16_e64 v160, v116, v156
	v_mul_f16_e64 v156, v157, v156
	s_delay_alu instid0(VALU_DEP_2) | instskip(SKIP_2) | instid1(VALU_DEP_3)
	v_fmac_f16_e64 v160, v157, v136
	s_wait_loadcnt 0x11
	v_lshrrev_b32_e32 v157, 16, v138
	v_fma_f16 v116, v116, v136, -v156
	v_lshrrev_b32_e32 v136, 16, v119
	v_mul_f16_e64 v156, v117, v159
	v_fma_f16 v117, v117, v137, -v162
	s_wait_loadcnt 0x10
	v_lshrrev_b32_e32 v159, 16, v139
	v_mul_f16_e64 v162, v118, v157
	v_mul_f16_e64 v157, v161, v157
	v_fmac_f16_e64 v156, v158, v137
	s_wait_dscnt 0x7
	v_lshrrev_b32_e32 v137, 16, v120
	v_mul_f16_e64 v158, v136, v159
	v_fmac_f16_e64 v162, v161, v138
	s_wait_loadcnt 0xf
	v_lshrrev_b32_e32 v161, 16, v140
	v_fma_f16 v118, v118, v138, -v157
	v_lshrrev_b32_e32 v138, 16, v121
	v_mul_f16_e64 v157, v119, v159
	v_fma_f16 v119, v119, v139, -v158
	s_wait_loadcnt 0xe
	v_lshrrev_b32_e32 v158, 16, v141
	v_mul_f16_e64 v159, v120, v161
	v_mul_f16_e64 v161, v137, v161
	v_fmac_f16_e64 v157, v136, v139
	s_wait_dscnt 0x6
	v_lshrrev_b32_e32 v136, 16, v122
	v_mul_f16_e64 v139, v138, v158
	;; [unrolled: 15-line block ×6, first 2 shown]
	v_fmac_f16_e64 v146, v137, v149
	v_lshrrev_b32_e32 v137, 16, v148
	v_fma_f16 v129, v129, v149, -v140
	v_lshrrev_b32_e32 v140, 16, v131
	v_mul_f16_e64 v145, v128, v145
	v_fma_f16 v128, v128, v150, -v147
	s_wait_loadcnt 0x3
	v_lshrrev_b32_e32 v147, 16, v152
	v_mul_f16_e64 v149, v130, v137
	v_mul_f16_e64 v137, v136, v137
	v_fmac_f16_e64 v145, v138, v150
	s_wait_dscnt 0x1
	v_lshrrev_b32_e32 v138, 16, v133
	v_mul_f16_e64 v150, v140, v147
	v_fmac_f16_e64 v149, v136, v148
	s_wait_loadcnt 0x2
	v_lshrrev_b32_e32 v136, 16, v153
	v_fma_f16 v130, v130, v148, -v137
	v_lshrrev_b32_e32 v137, 16, v132
	v_mul_f16_e64 v147, v131, v147
	v_lshrrev_b32_e32 v148, 16, v151
	v_fma_f16 v131, v131, v152, -v150
	v_mul_f16_e64 v150, v133, v136
	v_mul_f16_e64 v136, v138, v136
	v_fmac_f16_e64 v147, v140, v152
	v_mul_f16_e64 v152, v137, v148
	s_wait_dscnt 0x0
	v_lshrrev_b32_e32 v140, 16, v134
	v_fmac_f16_e64 v150, v138, v153
	v_lshrrev_b32_e32 v138, 16, v135
	v_fma_f16 v133, v133, v153, -v136
	s_wait_loadcnt 0x1
	v_lshrrev_b32_e32 v136, 16, v154
	v_mul_f16_e64 v148, v132, v148
	v_fma_f16 v132, v132, v151, -v152
	s_wait_loadcnt 0x0
	v_lshrrev_b32_e32 v152, 16, v155
	v_pack_b32_f16 v116, v116, v160
	v_mul_f16_e64 v153, v134, v136
	v_mul_f16_e64 v136, v140, v136
	v_fmac_f16_e64 v148, v137, v151
	v_mul_f16_e64 v137, v138, v152
	v_mul_f16_e64 v151, v135, v152
	v_fmac_f16_e64 v153, v140, v154
	v_fma_f16 v134, v134, v154, -v136
	v_pack_b32_f16 v117, v117, v156
	v_fma_f16 v135, v135, v155, -v137
	v_fmac_f16_e64 v151, v138, v155
	v_pack_b32_f16 v118, v118, v162
	v_pack_b32_f16 v119, v119, v157
	;; [unrolled: 1-line block ×18, first 2 shown]
	ds_store_2addr_stride64_b32 v52, v116, v117 offset1:2
	ds_store_2addr_stride64_b32 v52, v118, v119 offset0:20 offset1:22
	ds_store_2addr_stride64_b32 v52, v120, v121 offset0:12 offset1:14
	ds_store_2addr_stride64_b32 v52, v122, v123 offset0:32 offset1:34
	ds_store_2addr_stride64_b32 v52, v124, v125 offset0:4 offset1:6
	ds_store_2addr_stride64_b32 v52, v126, v127 offset0:24 offset1:26
	ds_store_2addr_stride64_b32 v52, v128, v129 offset0:8 offset1:10
	ds_store_2addr_stride64_b32 v52, v130, v131 offset0:16 offset1:18
	ds_store_2addr_stride64_b32 v52, v132, v133 offset0:28 offset1:30
	ds_store_2addr_stride64_b32 v52, v134, v135 offset0:36 offset1:38
	global_wb scope:SCOPE_SE
	s_wait_dscnt 0x0
	s_barrier_signal -1
	s_barrier_wait -1
	global_inv scope:SCOPE_SE
	ds_load_2addr_stride64_b32 v[116:117], v52 offset1:2
	ds_load_2addr_stride64_b32 v[118:119], v52 offset0:20 offset1:22
	ds_load_2addr_stride64_b32 v[120:121], v52 offset0:8 offset1:10
	;; [unrolled: 1-line block ×9, first 2 shown]
	global_wb scope:SCOPE_SE
	s_wait_dscnt 0x0
	s_barrier_signal -1
	s_barrier_wait -1
	global_inv scope:SCOPE_SE
	v_pk_add_f16 v136, v116, v118 neg_lo:[0,1] neg_hi:[0,1]
	v_pk_add_f16 v118, v121, v123 neg_lo:[0,1] neg_hi:[0,1]
	;; [unrolled: 1-line block ×10, first 2 shown]
	v_lshrrev_b32_e32 v135, 16, v136
	v_lshrrev_b32_e32 v134, 16, v118
	v_pk_fma_f16 v116, v116, 2.0, v136 op_sel_hi:[1,0,1] neg_lo:[0,0,1] neg_hi:[0,0,1]
	v_pk_fma_f16 v121, v121, 2.0, v118 op_sel_hi:[1,0,1] neg_lo:[0,0,1] neg_hi:[0,0,1]
	v_lshrrev_b32_e32 v138, 16, v119
	v_lshrrev_b32_e32 v139, 16, v123
	;; [unrolled: 1-line block ×6, first 2 shown]
	v_pk_fma_f16 v144, v120, 2.0, v137 op_sel_hi:[1,0,1] neg_lo:[0,0,1] neg_hi:[0,0,1]
	v_pk_fma_f16 v120, v132, 2.0, v130 op_sel_hi:[1,0,1] neg_lo:[0,0,1] neg_hi:[0,0,1]
	;; [unrolled: 1-line block ×3, first 2 shown]
	v_lshrrev_b32_e32 v133, 16, v122
	v_lshrrev_b32_e32 v145, 16, v137
	v_pk_fma_f16 v117, v117, 2.0, v123 op_sel_hi:[1,0,1] neg_lo:[0,0,1] neg_hi:[0,0,1]
	v_pk_fma_f16 v124, v124, 2.0, v119 op_sel_hi:[1,0,1] neg_lo:[0,0,1] neg_hi:[0,0,1]
	;; [unrolled: 1-line block ×4, first 2 shown]
	v_sub_f16_e64 v146, v135, v118
	v_add_f16_e64 v147, v136, v134
	v_pk_add_f16 v118, v116, v121 neg_lo:[0,1] neg_hi:[0,1]
	v_add_f16_e64 v121, v123, v138
	v_sub_f16_e64 v138, v139, v119
	v_sub_f16_e64 v148, v140, v126
	v_add_f16_e64 v141, v127, v141
	v_pk_fma_f16 v129, v129, 2.0, v131 op_sel_hi:[1,0,1] neg_lo:[0,0,1] neg_hi:[0,0,1]
	v_add_f16_e64 v142, v131, v142
	v_sub_f16_e64 v149, v143, v130
	v_add_f16_e64 v133, v137, v133
	v_sub_f16_e64 v150, v145, v122
	v_pk_add_f16 v122, v117, v124 neg_lo:[0,1] neg_hi:[0,1]
	v_pk_add_f16 v126, v128, v125 neg_lo:[0,1] neg_hi:[0,1]
	v_fma_f16 v125, v135, 2.0, -v146
	v_fma_f16 v136, v136, 2.0, -v147
	v_pack_b32_f16 v119, v147, v146
	v_fma_f16 v146, v123, 2.0, -v121
	v_fma_f16 v139, v139, 2.0, -v138
	v_pack_b32_f16 v123, v121, v138
	v_fma_f16 v138, v140, 2.0, -v148
	v_fma_f16 v140, v127, 2.0, -v141
	v_pk_add_f16 v130, v129, v120 neg_lo:[0,1] neg_hi:[0,1]
	v_pack_b32_f16 v127, v141, v148
	v_fma_f16 v141, v131, 2.0, -v142
	v_fma_f16 v143, v143, 2.0, -v149
	v_pk_add_f16 v134, v144, v132 neg_lo:[0,1] neg_hi:[0,1]
	v_pack_b32_f16 v131, v142, v149
	v_fma_f16 v137, v137, 2.0, -v133
	v_fma_f16 v142, v145, 2.0, -v150
	v_pk_fma_f16 v116, v116, 2.0, v118 op_sel_hi:[1,0,1] neg_lo:[0,0,1] neg_hi:[0,0,1]
	v_pk_fma_f16 v120, v117, 2.0, v122 op_sel_hi:[1,0,1] neg_lo:[0,0,1] neg_hi:[0,0,1]
	v_pack_b32_f16 v117, v136, v125
	v_pack_b32_f16 v121, v146, v139
	v_pk_fma_f16 v124, v128, 2.0, v126 op_sel_hi:[1,0,1] neg_lo:[0,0,1] neg_hi:[0,0,1]
	v_pack_b32_f16 v125, v140, v138
	v_pk_fma_f16 v128, v129, 2.0, v130 op_sel_hi:[1,0,1] neg_lo:[0,0,1] neg_hi:[0,0,1]
	v_pack_b32_f16 v129, v141, v143
	v_pack_b32_f16 v135, v133, v150
	v_pk_fma_f16 v132, v144, 2.0, v134 op_sel_hi:[1,0,1] neg_lo:[0,0,1] neg_hi:[0,0,1]
	v_pack_b32_f16 v133, v137, v142
	ds_store_b128 v90, v[116:119]
	ds_store_b128 v90, v[120:123] offset:2048
	ds_store_b128 v90, v[124:127] offset:4096
	;; [unrolled: 1-line block ×4, first 2 shown]
	global_wb scope:SCOPE_SE
	s_wait_dscnt 0x0
	s_barrier_signal -1
	s_barrier_wait -1
	global_inv scope:SCOPE_SE
	ds_load_2addr_stride64_b32 v[116:117], v52 offset0:20 offset1:22
	ds_load_2addr_stride64_b32 v[118:119], v52 offset0:24 offset1:26
	;; [unrolled: 1-line block ×8, first 2 shown]
	ds_load_2addr_stride64_b32 v[132:133], v52 offset1:2
	ds_load_2addr_stride64_b32 v[134:135], v52 offset0:4 offset1:6
	global_wb scope:SCOPE_SE
	s_wait_dscnt 0x0
	s_barrier_signal -1
	s_barrier_wait -1
	global_inv scope:SCOPE_SE
	v_lshrrev_b32_e32 v90, 16, v116
	v_lshrrev_b32_e32 v136, 16, v117
	;; [unrolled: 1-line block ×3, first 2 shown]
	v_mul_f16_e64 v137, v89, v116
	v_mul_f16_e64 v138, v89, v117
	v_lshrrev_b32_e32 v140, 16, v119
	v_mul_f16_e64 v158, v89, v90
	v_mul_f16_e64 v159, v89, v136
	;; [unrolled: 1-line block ×3, first 2 shown]
	v_lshrrev_b32_e32 v143, 16, v121
	v_mul_f16_e64 v146, v44, v121
	v_fma_f16 v90, v13, v90, -v137
	v_lshrrev_b32_e32 v137, 16, v131
	v_fma_f16 v136, v13, v136, -v138
	v_mul_f16_e64 v138, v91, v131
	v_mul_f16_e64 v141, v89, v118
	v_lshrrev_b32_e32 v142, 16, v120
	v_lshrrev_b32_e32 v147, 16, v122
	;; [unrolled: 1-line block ×3, first 2 shown]
	v_mul_f16_e64 v149, v44, v122
	v_mul_f16_e64 v150, v44, v123
	v_lshrrev_b32_e32 v151, 16, v124
	v_lshrrev_b32_e32 v152, 16, v125
	v_mul_f16_e64 v153, v44, v124
	v_lshrrev_b32_e32 v155, 16, v126
	v_lshrrev_b32_e32 v156, 16, v127
	v_mul_f16_e64 v157, v91, v126
	v_mul_f16_e64 v160, v91, v127
	;; [unrolled: 1-line block ×3, first 2 shown]
	v_fmac_f16_e64 v158, v13, v116
	v_fmac_f16_e64 v159, v13, v117
	v_lshrrev_b32_e32 v116, 16, v128
	v_lshrrev_b32_e32 v117, 16, v129
	v_fmac_f16_e64 v161, v13, v118
	v_mul_f16_e64 v118, v91, v128
	v_mul_f16_e64 v144, v89, v119
	v_fma_f16 v138, v12, v137, -v138
	v_mul_f16_e64 v137, v91, v137
	v_fma_f16 v146, v14, v143, -v146
	v_mul_f16_e64 v143, v44, v143
	v_mul_f16_e64 v145, v89, v120
	;; [unrolled: 1-line block ×3, first 2 shown]
	v_fmac_f16_e64 v162, v13, v119
	v_mul_f16_e64 v119, v91, v129
	v_fma_f16 v157, v12, v155, -v157
	v_mul_f16_e64 v155, v91, v155
	v_fma_f16 v160, v12, v156, -v160
	;; [unrolled: 2-line block ×3, first 2 shown]
	v_mul_f16_e32 v116, v91, v116
	v_mul_f16_e32 v91, v91, v117
	v_mul_f16_e64 v89, v89, v142
	v_fma_f16 v149, v14, v147, -v149
	v_mul_f16_e64 v147, v44, v147
	v_fma_f16 v150, v14, v148, -v150
	v_mul_f16_e64 v148, v44, v148
	v_fma_f16 v153, v14, v151, -v153
	v_mul_f16_e64 v151, v44, v151
	v_mul_f16_e64 v44, v44, v152
	v_fma_f16 v139, v13, v139, -v141
	v_lshrrev_b32_e32 v141, 16, v132
	v_fma_f16 v140, v13, v140, -v144
	v_lshrrev_b32_e32 v144, 16, v133
	v_fmac_f16_e64 v143, v14, v121
	v_fmac_f16_e64 v137, v12, v131
	v_fma_f16 v117, v12, v117, -v119
	v_lshrrev_b32_e32 v119, 16, v134
	v_fma_f16 v142, v13, v142, -v145
	v_fma_f16 v152, v14, v152, -v154
	v_lshrrev_b32_e32 v154, 16, v130
	v_fmac_f16_e32 v89, v13, v120
	v_fmac_f16_e64 v147, v14, v122
	v_fmac_f16_e32 v44, v14, v125
	v_fmac_f16_e64 v155, v12, v126
	v_fmac_f16_e64 v91, v12, v129
	;; [unrolled: 1-line block ×4, first 2 shown]
	v_sub_f16_e64 v13, v138, v146
	v_lshrrev_b32_e32 v145, 16, v135
	v_fmac_f16_e64 v151, v14, v124
	v_fmac_f16_e64 v116, v12, v128
	v_sub_f16_e64 v12, v141, v90
	v_sub_f16_e64 v90, v144, v136
	;; [unrolled: 1-line block ×11, first 2 shown]
	v_sub_f16_e32 v44, v91, v44
	v_sub_f16_e64 v120, v160, v150
	v_sub_f16_e64 v122, v118, v153
	v_fma_f16 v128, v138, 2.0, -v13
	v_sub_f16_e64 v136, v134, v161
	v_sub_f16_e64 v138, v135, v162
	v_sub_f16_e64 v142, v156, v148
	v_sub_f16_e64 v123, v145, v140
	v_fma_f16 v126, v141, 2.0, -v12
	v_fma_f16 v141, v144, 2.0, -v90
	v_sub_f16_e64 v144, v116, v151
	v_fma_f16 v137, v137, 2.0, -v127
	v_fma_f16 v132, v132, 2.0, -v129
	;; [unrolled: 1-line block ×4, first 2 shown]
	v_add_f16_e64 v13, v129, v13
	v_sub_f16_e32 v127, v12, v127
	v_fma_f16 v133, v133, 2.0, -v131
	v_fma_f16 v147, v155, 2.0, -v139
	;; [unrolled: 1-line block ×3, first 2 shown]
	v_add_f16_e32 v124, v89, v124
	v_sub_f16_e32 v44, v125, v44
	v_fma_f16 v143, v160, 2.0, -v120
	v_fma_f16 v119, v119, 2.0, -v121
	;; [unrolled: 1-line block ×4, first 2 shown]
	v_add_f16_e64 v14, v131, v14
	v_fma_f16 v148, v156, 2.0, -v142
	v_add_f16_e64 v122, v138, v122
	v_fma_f16 v145, v145, 2.0, -v123
	v_fma_f16 v146, v154, 2.0, -v125
	;; [unrolled: 1-line block ×4, first 2 shown]
	v_sub_f16_e64 v139, v90, v139
	v_fma_f16 v116, v116, 2.0, -v144
	v_sub_f16_e64 v128, v126, v128
	v_sub_f16_e64 v137, v132, v137
	v_add_f16_e64 v120, v136, v120
	v_sub_f16_e64 v140, v141, v140
	v_pack_b32_f16 v149, v13, v127
	v_fma_f16 v13, v129, 2.0, -v13
	v_fma_f16 v12, v12, 2.0, -v127
	;; [unrolled: 1-line block ×4, first 2 shown]
	v_pack_b32_f16 v44, v124, v44
	v_sub_f16_e64 v124, v133, v147
	v_sub_f16_e64 v142, v121, v142
	;; [unrolled: 1-line block ×3, first 2 shown]
	v_fma_f16 v127, v131, 2.0, -v14
	v_fma_f16 v131, v138, 2.0, -v122
	v_sub_f16_e64 v138, v134, v148
	v_sub_f16_e64 v144, v123, v144
	;; [unrolled: 1-line block ×4, first 2 shown]
	v_fma_f16 v90, v90, 2.0, -v139
	v_sub_f16_e64 v116, v135, v116
	v_sub_f16_e64 v91, v130, v91
	v_fma_f16 v126, v126, 2.0, -v128
	v_fma_f16 v132, v132, 2.0, -v137
	v_pack_b32_f16 v14, v14, v139
	v_fma_f16 v129, v136, 2.0, -v120
	v_fma_f16 v136, v141, 2.0, -v140
	v_pack_b32_f16 v12, v13, v12
	v_pack_b32_f16 v13, v124, v140
	v_fma_f16 v124, v133, 2.0, -v124
	v_fma_f16 v121, v121, 2.0, -v142
	;; [unrolled: 1-line block ×4, first 2 shown]
	v_pack_b32_f16 v120, v120, v142
	v_fma_f16 v123, v123, 2.0, -v144
	v_fma_f16 v139, v145, 2.0, -v118
	;; [unrolled: 1-line block ×3, first 2 shown]
	v_pack_b32_f16 v128, v137, v128
	v_pack_b32_f16 v90, v127, v90
	;; [unrolled: 1-line block ×4, first 2 shown]
	v_fma_f16 v116, v135, 2.0, -v116
	v_pack_b32_f16 v89, v89, v125
	v_fma_f16 v125, v130, 2.0, -v91
	v_pack_b32_f16 v122, v122, v144
	v_pack_b32_f16 v91, v91, v117
	;; [unrolled: 1-line block ×3, first 2 shown]
	ds_store_2addr_b32 v37, v13, v14 offset0:8 offset1:12
	v_pack_b32_f16 v13, v124, v136
	v_pack_b32_f16 v121, v129, v121
	;; [unrolled: 1-line block ×4, first 2 shown]
	ds_store_2addr_b32 v36, v128, v149 offset0:8 offset1:12
	ds_store_2addr_b32 v38, v127, v120 offset0:8 offset1:12
	;; [unrolled: 1-line block ×3, first 2 shown]
	v_pack_b32_f16 v116, v116, v139
	v_pack_b32_f16 v118, v125, v141
	ds_store_2addr_b32 v40, v91, v44 offset0:8 offset1:12
	ds_store_2addr_b32 v36, v117, v12 offset1:4
	ds_store_2addr_b32 v37, v13, v90 offset1:4
	;; [unrolled: 1-line block ×5, first 2 shown]
	global_wb scope:SCOPE_SE
	s_wait_dscnt 0x0
	s_barrier_signal -1
	s_barrier_wait -1
	global_inv scope:SCOPE_SE
	ds_load_2addr_stride64_b32 v[12:13], v52 offset0:20 offset1:22
	ds_load_2addr_stride64_b32 v[36:37], v52 offset0:24 offset1:26
	;; [unrolled: 1-line block ×8, first 2 shown]
	ds_load_2addr_stride64_b32 v[124:125], v52 offset1:2
	ds_load_2addr_stride64_b32 v[126:127], v52 offset0:4 offset1:6
	global_wb scope:SCOPE_SE
	s_wait_dscnt 0x0
	s_barrier_signal -1
	s_barrier_wait -1
	global_inv scope:SCOPE_SE
	v_lshrrev_b32_e32 v14, 16, v12
	v_lshrrev_b32_e32 v40, 16, v13
	;; [unrolled: 1-line block ×3, first 2 shown]
	v_mul_f16_e32 v91, v43, v12
	v_mul_f16_e64 v128, v43, v13
	v_lshrrev_b32_e32 v129, 16, v37
	v_mul_f16_e64 v130, v43, v36
	v_lshrrev_b32_e32 v132, 16, v38
	v_lshrrev_b32_e32 v134, 16, v39
	v_mul_f16_e64 v135, v42, v39
	v_lshrrev_b32_e32 v136, 16, v89
	;; [unrolled: 3-line block ×3, first 2 shown]
	v_lshrrev_b32_e32 v140, 16, v117
	v_lshrrev_b32_e32 v144, 16, v118
	;; [unrolled: 1-line block ×3, first 2 shown]
	v_mul_f16_e64 v146, v41, v118
	v_mul_f16_e64 v147, v41, v119
	v_lshrrev_b32_e32 v148, 16, v120
	v_lshrrev_b32_e32 v149, 16, v121
	;; [unrolled: 1-line block ×3, first 2 shown]
	v_mul_f16_e64 v153, v41, v123
	v_mul_f16_e64 v141, v42, v90
	;; [unrolled: 1-line block ×13, first 2 shown]
	v_fma_f16 v14, v10, v14, -v91
	v_mul_f16_e64 v91, v42, v134
	v_fma_f16 v134, v11, v134, -v135
	v_mul_f16_e64 v135, v42, v136
	;; [unrolled: 2-line block ×4, first 2 shown]
	v_mul_f16_e64 v42, v42, v140
	v_fma_f16 v146, v9, v144, -v146
	v_mul_f16_e64 v144, v41, v144
	v_fma_f16 v147, v9, v145, -v147
	;; [unrolled: 2-line block ×4, first 2 shown]
	v_mul_f16_e64 v152, v41, v152
	v_mul_f16_e64 v41, v41, v149
	v_lshrrev_b32_e32 v154, 16, v124
	v_lshrrev_b32_e32 v156, 16, v126
	v_fma_f16 v137, v11, v137, -v141
	v_lshrrev_b32_e32 v155, 16, v125
	v_lshrrev_b32_e32 v158, 16, v122
	v_fma_f16 v129, v10, v129, -v131
	v_fma_f16 v131, v11, v139, -v142
	;; [unrolled: 1-line block ×5, first 2 shown]
	v_fmac_f16_e64 v159, v10, v12
	v_fmac_f16_e32 v91, v11, v39
	v_fmac_f16_e32 v43, v10, v38
	;; [unrolled: 1-line block ×4, first 2 shown]
	v_fmac_f16_e64 v152, v9, v123
	v_fma_f16 v141, v9, v148, -v150
	v_fmac_f16_e64 v160, v10, v13
	v_fmac_f16_e64 v161, v10, v36
	;; [unrolled: 1-line block ×7, first 2 shown]
	v_sub_f16_e64 v9, v153, v134
	v_sub_f16_e64 v10, v154, v14
	v_fmac_f16_e64 v128, v11, v90
	v_lshrrev_b32_e32 v157, 16, v127
	v_fmac_f16_e64 v138, v11, v116
	v_sub_f16_e64 v13, v147, v137
	v_sub_f16_e64 v14, v156, v44
	;; [unrolled: 1-line block ×6, first 2 shown]
	v_sub_f16_e32 v43, v122, v43
	v_sub_f16_e64 v91, v152, v91
	v_sub_f16_e32 v42, v41, v42
	v_sub_f16_e64 v11, v146, v136
	v_sub_f16_e64 v44, v125, v160
	v_fma_f16 v116, v153, 2.0, -v9
	v_fma_f16 v117, v154, 2.0, -v10
	v_sub_f16_e64 v118, v144, v135
	v_sub_f16_e64 v89, v126, v161
	;; [unrolled: 1-line block ×6, first 2 shown]
	v_fma_f16 v123, v147, 2.0, -v13
	v_fma_f16 v128, v156, 2.0, -v14
	v_sub_f16_e64 v129, v130, v138
	v_fma_f16 v133, v139, 2.0, -v38
	v_fma_f16 v124, v124, 2.0, -v40
	v_fma_f16 v135, v152, 2.0, -v91
	v_fma_f16 v41, v41, 2.0, -v42
	v_add_f16_e32 v38, v43, v38
	v_sub_f16_e32 v42, v39, v42
	v_fma_f16 v119, v146, 2.0, -v11
	v_fma_f16 v120, v155, 2.0, -v12
	;; [unrolled: 1-line block ×3, first 2 shown]
	v_add_f16_e32 v9, v40, v9
	v_sub_f16_e32 v91, v10, v91
	v_fma_f16 v136, v144, 2.0, -v118
	v_sub_f16_e32 v116, v117, v116
	v_fma_f16 v126, v126, 2.0, -v89
	v_add_f16_e32 v11, v44, v11
	v_sub_f16_e32 v118, v12, v118
	v_fma_f16 v137, v145, 2.0, -v121
	v_fma_f16 v131, v141, 2.0, -v36
	;; [unrolled: 1-line block ×6, first 2 shown]
	v_add_f16_e32 v13, v89, v13
	v_sub_f16_e32 v121, v14, v121
	v_fma_f16 v130, v130, 2.0, -v129
	v_sub_f16_e64 v123, v128, v123
	v_fma_f16 v43, v43, 2.0, -v38
	v_fma_f16 v39, v39, 2.0, -v42
	v_pack_b32_f16 v38, v38, v42
	v_sub_f16_e64 v42, v124, v135
	v_sub_f16_e32 v119, v120, v119
	v_fma_f16 v40, v40, 2.0, -v9
	v_pack_b32_f16 v9, v9, v91
	v_fma_f16 v10, v10, 2.0, -v91
	v_fma_f16 v91, v117, 2.0, -v116
	v_sub_f16_e64 v117, v125, v136
	v_fma_f16 v44, v44, 2.0, -v11
	v_pack_b32_f16 v11, v11, v118
	v_fma_f16 v12, v12, 2.0, -v118
	v_sub_f16_e64 v118, v126, v137
	v_add_f16_e32 v36, v90, v36
	v_sub_f16_e64 v129, v37, v129
	v_sub_f16_e64 v131, v132, v131
	;; [unrolled: 1-line block ×3, first 2 shown]
	v_fma_f16 v89, v89, 2.0, -v13
	v_pack_b32_f16 v13, v13, v121
	v_fma_f16 v14, v14, 2.0, -v121
	v_fma_f16 v121, v128, 2.0, -v123
	v_sub_f16_e64 v128, v127, v130
	v_sub_f16_e32 v41, v122, v41
	v_pack_b32_f16 v116, v42, v116
	v_fma_f16 v42, v124, 2.0, -v42
	v_fma_f16 v120, v120, 2.0, -v119
	v_pack_b32_f16 v119, v117, v119
	v_fma_f16 v117, v125, 2.0, -v117
	v_pack_b32_f16 v123, v118, v123
	v_fma_f16 v118, v126, 2.0, -v118
	v_fma_f16 v90, v90, 2.0, -v36
	;; [unrolled: 1-line block ×3, first 2 shown]
	v_pack_b32_f16 v36, v36, v129
	v_fma_f16 v129, v132, 2.0, -v131
	v_fma_f16 v130, v134, 2.0, -v133
	v_pack_b32_f16 v10, v40, v10
	v_pack_b32_f16 v12, v44, v12
	v_fma_f16 v40, v127, 2.0, -v128
	v_pack_b32_f16 v44, v128, v131
	v_pack_b32_f16 v39, v43, v39
	v_fma_f16 v43, v122, 2.0, -v41
	v_pack_b32_f16 v41, v41, v133
	ds_store_2addr_b32 v31, v116, v9 offset0:32 offset1:48
	ds_store_2addr_b32 v32, v119, v11 offset0:32 offset1:48
	;; [unrolled: 1-line block ×3, first 2 shown]
	v_pack_b32_f16 v9, v42, v91
	v_pack_b32_f16 v11, v117, v120
	;; [unrolled: 1-line block ×6, first 2 shown]
	ds_store_2addr_b32 v34, v44, v36 offset0:32 offset1:48
	v_pack_b32_f16 v36, v43, v130
	ds_store_2addr_b32 v35, v41, v38 offset0:32 offset1:48
	ds_store_2addr_b32 v31, v9, v10 offset1:16
	ds_store_2addr_b32 v32, v11, v12 offset1:16
	ds_store_2addr_b32 v33, v13, v14 offset1:16
	ds_store_2addr_b32 v34, v40, v37 offset1:16
	ds_store_2addr_b32 v35, v36, v39 offset1:16
	global_wb scope:SCOPE_SE
	s_wait_dscnt 0x0
	s_barrier_signal -1
	s_barrier_wait -1
	global_inv scope:SCOPE_SE
	ds_load_2addr_stride64_b32 v[9:10], v52 offset0:4 offset1:6
	ds_load_2addr_stride64_b32 v[11:12], v52 offset0:8 offset1:10
	;; [unrolled: 1-line block ×9, first 2 shown]
	ds_load_2addr_stride64_b32 v[35:36], v52 offset1:2
	global_wb scope:SCOPE_SE
	s_wait_dscnt 0x0
	s_barrier_signal -1
	s_barrier_wait -1
	global_inv scope:SCOPE_SE
	v_lshrrev_b32_e32 v116, 16, v9
	v_lshrrev_b32_e32 v117, 16, v11
	;; [unrolled: 1-line block ×6, first 2 shown]
	v_mul_f16_e32 v122, v100, v9
	v_mul_f16_e32 v123, v99, v11
	;; [unrolled: 1-line block ×6, first 2 shown]
	v_lshrrev_b32_e32 v128, 16, v31
	v_mul_f16_e64 v129, v97, v31
	v_lshrrev_b32_e32 v130, 16, v32
	v_mul_f16_e64 v131, v97, v32
	v_lshrrev_b32_e32 v132, 16, v33
	v_lshrrev_b32_e32 v133, 16, v34
	;; [unrolled: 1-line block ×4, first 2 shown]
	v_mul_f16_e64 v136, v96, v33
	v_mul_f16_e64 v137, v96, v34
	;; [unrolled: 1-line block ×4, first 2 shown]
	v_lshrrev_b32_e32 v140, 16, v39
	v_mul_f16_e64 v141, v94, v39
	v_lshrrev_b32_e32 v142, 16, v40
	v_mul_f16_e64 v143, v94, v40
	;; [unrolled: 2-line block ×4, first 2 shown]
	v_lshrrev_b32_e32 v148, 16, v43
	v_lshrrev_b32_e32 v149, 16, v44
	v_mul_f16_e64 v150, v92, v44
	v_mul_f16_e64 v151, v92, v43
	v_lshrrev_b32_e32 v89, 16, v36
	v_lshrrev_b32_e32 v91, 16, v35
	v_mul_f16_e64 v152, v100, v116
	v_mul_f16_e32 v90, v100, v119
	v_mul_f16_e32 v100, v99, v117
	v_mul_f16_e32 v99, v99, v120
	v_mul_f16_e64 v153, v98, v118
	v_mul_f16_e32 v98, v98, v121
	v_mul_f16_e64 v154, v97, v128
	v_mul_f16_e64 v155, v97, v130
	v_fma_f16 v116, v1, v116, -v122
	v_fma_f16 v117, v2, v117, -v123
	;; [unrolled: 1-line block ×9, first 2 shown]
	v_mul_f16_e64 v124, v96, v132
	v_mul_f16_e64 v96, v96, v133
	v_fma_f16 v125, v5, v133, -v137
	v_fma_f16 v126, v6, v134, -v138
	v_mul_f16_e64 v127, v95, v134
	v_mul_f16_e64 v95, v95, v135
	v_fma_f16 v128, v6, v135, -v139
	v_fma_f16 v129, v7, v140, -v141
	;; [unrolled: 4-line block ×3, first 2 shown]
	v_mul_f16_e64 v133, v93, v144
	v_mul_f16_e64 v93, v93, v146
	v_fma_f16 v134, v8, v146, -v147
	v_mul_f16_e64 v135, v92, v148
	v_fma_f16 v136, v86, v149, -v150
	v_mul_f16_e64 v92, v92, v149
	v_fma_f16 v137, v86, v148, -v151
	v_fmac_f16_e64 v152, v1, v9
	v_fmac_f16_e32 v90, v1, v10
	v_fmac_f16_e32 v100, v2, v11
	;; [unrolled: 1-line block ×3, first 2 shown]
	v_fmac_f16_e64 v153, v3, v13
	v_fmac_f16_e32 v98, v3, v14
	v_fmac_f16_e64 v154, v4, v31
	v_fmac_f16_e64 v155, v4, v32
	v_fmac_f16_e32 v124, v5, v33
	v_fmac_f16_e32 v96, v5, v34
	;; [unrolled: 1-line block ×4, first 2 shown]
	v_fmac_f16_e64 v130, v7, v39
	v_fmac_f16_e32 v94, v7, v40
	v_fmac_f16_e64 v133, v8, v41
	v_fmac_f16_e32 v93, v8, v42
	v_fmac_f16_e64 v135, v86, v43
	v_fmac_f16_e32 v92, v86, v44
	v_add_f16_e64 v1, v125, v131
	v_add_f16_e64 v2, v120, v136
	v_add_f16_e32 v3, v97, v120
	v_sub_f16_e32 v4, v125, v120
	v_sub_f16_e64 v5, v131, v136
	v_sub_f16_e32 v6, v117, v122
	v_sub_f16_e64 v7, v132, v126
	v_add_f16_e32 v8, v122, v126
	v_add_f16_e64 v9, v117, v132
	v_add_f16_e32 v10, v91, v117
	v_sub_f16_e32 v11, v122, v117
	v_sub_f16_e64 v12, v126, v132
	v_sub_f16_e32 v13, v118, v123
	v_sub_f16_e64 v14, v137, v129
	v_add_f16_e64 v31, v123, v129
	v_add_f16_e64 v32, v118, v137
	v_add_f16_e32 v33, v116, v118
	v_sub_f16_e32 v34, v123, v118
	v_sub_f16_e64 v37, v129, v137
	v_sub_f16_e32 v38, v119, v121
	v_sub_f16_e64 v39, v134, v128
	v_add_f16_e64 v40, v121, v128
	v_sub_f16_e32 v41, v121, v119
	v_add_f16_e64 v42, v119, v134
	v_sub_f16_e64 v43, v128, v134
	v_add_f16_e32 v44, v89, v119
	v_sub_f16_e32 v86, v120, v125
	v_sub_f16_e64 v138, v136, v131
	v_sub_f16_e64 v139, v122, v126
	;; [unrolled: 1-line block ×3, first 2 shown]
	v_fma_f16 v1, -0.5, v1, v97
	v_fmac_f16_e32 v97, -0.5, v2
	v_add_f16_e32 v2, v4, v5
	v_add_f16_e32 v4, v6, v7
	v_fma_f16 v5, -0.5, v8, v91
	v_fmac_f16_e32 v91, -0.5, v9
	v_add_f16_e32 v6, v11, v12
	v_add_f16_e32 v7, v13, v14
	;; [unrolled: 4-line block ×3, first 2 shown]
	v_fma_f16 v12, -0.5, v40, v89
	v_fmac_f16_e32 v89, -0.5, v42
	v_add_f16_e32 v13, v41, v43
	v_add_f16_e64 v14, v86, v138
	v_add_f16_e64 v31, v155, v95
	v_add_f16_e32 v32, v99, v93
	v_add_f16_e32 v34, v36, v99
	v_sub_f16_e64 v37, v155, v99
	v_sub_f16_e32 v38, v95, v93
	v_add_f16_e32 v39, v96, v94
	v_add_f16_e32 v40, v98, v92
	v_sub_f16_e32 v42, v96, v98
	v_sub_f16_e32 v43, v94, v92
	v_sub_f16_e64 v86, v100, v154
	v_sub_f16_e64 v138, v133, v127
	;; [unrolled: 1-line block ×4, first 2 shown]
	v_add_f16_e32 v10, v10, v122
	v_sub_f16_e64 v122, v153, v124
	v_add_f16_e64 v146, v124, v130
	v_add_f16_e64 v147, v153, v135
	;; [unrolled: 1-line block ×3, first 2 shown]
	v_sub_f16_e64 v149, v124, v153
	v_add_f16_e32 v33, v33, v123
	v_add_f16_e32 v44, v44, v121
	;; [unrolled: 1-line block ×4, first 2 shown]
	v_add_f16_e64 v157, v154, v127
	v_sub_f16_e64 v159, v100, v133
	v_sub_f16_e64 v160, v124, v130
	;; [unrolled: 1-line block ×5, first 2 shown]
	v_add_f16_e64 v100, v100, v133
	v_sub_f16_e64 v140, v123, v129
	v_sub_f16_e64 v145, v135, v130
	;; [unrolled: 1-line block ×6, first 2 shown]
	v_add_f16_e32 v41, v90, v98
	v_sub_f16_e32 v121, v98, v96
	v_sub_f16_e64 v158, v154, v127
	v_sub_f16_e32 v99, v99, v93
	v_sub_f16_e32 v98, v98, v92
	v_fma_f16 v31, -0.5, v31, v36
	v_fmac_f16_e32 v36, -0.5, v32
	v_add_f16_e32 v32, v37, v38
	v_fma_f16 v37, -0.5, v39, v90
	v_fmac_f16_e32 v90, -0.5, v40
	v_add_f16_e32 v38, v42, v43
	v_add_f16_e64 v39, v86, v138
	v_add_f16_e64 v40, v143, v144
	v_fma_f16 v43, -0.5, v146, v152
	v_fmac_f16_e64 v152, -0.5, v147
	v_add_f16_e64 v33, v33, v129
	v_add_f16_e64 v44, v44, v128
	v_fma_f16 v128, 0x3b9c, v153, v8
	v_fmac_f16_e64 v8, 0xbb9c, v153
	v_fma_f16 v129, 0xbb9c, v160, v116
	v_fmac_f16_e64 v116, 0x3b9c, v160
	v_add_f16_e64 v34, v34, v155
	v_fma_f16 v138, 0xbb9c, v161, v89
	v_fmac_f16_e64 v89, 0x3b9c, v161
	v_fma_f16 v143, 0xbb9c, v162, v97
	v_fmac_f16_e64 v97, 0x3b9c, v162
	v_fma_f16 v144, -0.5, v157, v35
	v_fma_f16 v35, -0.5, v100, v35
	v_add_f16_e64 v42, v122, v145
	v_add_f16_e64 v122, v123, v151
	;; [unrolled: 1-line block ×4, first 2 shown]
	v_sub_f16_e64 v117, v117, v132
	v_sub_f16_e64 v150, v130, v135
	v_add_f16_e32 v10, v10, v126
	v_add_f16_e64 v3, v3, v131
	v_fma_f16 v126, 0xbb9c, v158, v91
	v_fmac_f16_e64 v91, 0x3b9c, v158
	v_fma_f16 v131, 0x3b9c, v99, v12
	v_fmac_f16_e32 v12, 0xbb9c, v99
	v_add_f16_e32 v41, v41, v96
	v_fmamk_f16 v96, v98, 0x3b9c, v1
	v_fmac_f16_e32 v1, 0xbb9c, v98
	v_fmac_f16_e64 v8, 0xb8b4, v160
	v_fmac_f16_e64 v116, 0xb8b4, v153
	v_add_f16_e32 v34, v34, v95
	v_fmac_f16_e64 v138, 0x38b4, v99
	v_fmac_f16_e32 v89, 0xb8b4, v99
	v_fmac_f16_e32 v97, 0xb8b4, v98
	v_fmac_f16_e64 v143, 0x38b4, v98
	v_fma_f16 v95, 0x3b9c, v139, v35
	v_fmac_f16_e64 v35, 0xbb9c, v139
	v_fmamk_f16 v98, v118, 0xbb9c, v43
	v_fmac_f16_e32 v43, 0x3b9c, v118
	v_fma_f16 v99, 0x3b9c, v140, v152
	v_fmac_f16_e64 v152, 0xbb9c, v140
	v_sub_f16_e64 v119, v119, v134
	v_sub_f16_e64 v120, v120, v136
	v_add_f16_e32 v100, v123, v127
	v_add_f16_e64 v123, v124, v130
	v_fmac_f16_e64 v128, 0x38b4, v160
	v_fma_f16 v124, 0x3b9c, v141, v36
	v_fmac_f16_e64 v36, 0xbb9c, v141
	v_fma_f16 v130, 0x3b9c, v142, v90
	v_fmac_f16_e64 v90, 0xbb9c, v142
	v_sub_f16_e64 v156, v92, v94
	v_add_f16_e64 v86, v149, v150
	v_fma_f16 v125, 0x3b9c, v159, v5
	v_fmac_f16_e64 v5, 0xbb9c, v159
	v_add_f16_e64 v10, v10, v132
	v_fmac_f16_e64 v126, 0x38b4, v159
	v_fmac_f16_e64 v91, 0xb8b4, v159
	v_add_f16_e64 v33, v33, v137
	v_fmac_f16_e64 v129, 0x38b4, v153
	v_add_f16_e32 v41, v41, v94
	v_fma_f16 v94, 0xbb9c, v117, v144
	v_fmac_f16_e64 v144, 0x3b9c, v117
	v_fmac_f16_e32 v95, 0xb8b4, v117
	v_fmac_f16_e32 v35, 0x38b4, v117
	v_fmac_f16_e64 v43, 0x38b4, v140
	v_fmac_f16_e64 v152, 0x38b4, v118
	v_fmac_f16_e32 v8, 0x34f2, v7
	v_fmac_f16_e32 v116, 0x34f2, v9
	v_fmac_f16_e64 v131, 0x38b4, v161
	v_fmac_f16_e64 v12, 0xb8b4, v161
	;; [unrolled: 1-line block ×4, first 2 shown]
	v_fma_f16 v132, 0xbb9c, v120, v37
	v_fmac_f16_e32 v37, 0x3b9c, v120
	v_fmac_f16_e64 v98, 0xb8b4, v140
	v_fmac_f16_e64 v128, 0x34f2, v7
	v_fmac_f16_e32 v36, 0x38b4, v119
	v_fmac_f16_e32 v90, 0x38b4, v120
	v_fmac_f16_e32 v97, 0x34f2, v2
	v_fmac_f16_e32 v124, 0xb8b4, v119
	v_fmac_f16_e64 v5, 0xb8b4, v158
	v_fmac_f16_e64 v94, 0xb8b4, v139
	v_fmac_f16_e64 v144, 0x38b4, v139
	v_fmac_f16_e32 v126, 0x34f2, v6
	v_fmac_f16_e32 v91, 0x34f2, v6
	;; [unrolled: 1-line block ×3, first 2 shown]
	v_fmac_f16_e64 v129, 0x34f2, v9
	v_add_f16_e32 v6, v10, v33
	v_sub_f16_e32 v7, v10, v33
	v_add_f16_e32 v10, v41, v92
	v_fmac_f16_e64 v130, 0xb8b4, v120
	v_fmac_f16_e32 v95, 0x34f2, v40
	v_fmac_f16_e32 v35, 0x34f2, v40
	;; [unrolled: 1-line block ×3, first 2 shown]
	v_fmac_f16_e64 v152, 0x34f2, v86
	v_mul_f16_e32 v40, 0xb4f2, v116
	v_mul_f16_e32 v41, 0xb8b4, v8
	;; [unrolled: 1-line block ×3, first 2 shown]
	v_add_f16_e64 v121, v121, v156
	v_fmac_f16_e64 v125, 0x38b4, v158
	v_fmamk_f16 v127, v119, 0xbb9c, v31
	v_fmac_f16_e32 v31, 0x3b9c, v119
	v_fmac_f16_e64 v131, 0x34f2, v11
	v_fmac_f16_e32 v12, 0x34f2, v11
	v_fmac_f16_e64 v132, 0xb8b4, v142
	v_fmac_f16_e64 v37, 0x38b4, v142
	v_fmac_f16_e32 v96, 0x34f2, v14
	v_fmac_f16_e32 v36, 0x34f2, v32
	;; [unrolled: 1-line block ×3, first 2 shown]
	v_mul_f16_e32 v11, 0xbb9c, v97
	v_fmac_f16_e32 v98, 0x34f2, v42
	v_fmac_f16_e32 v124, 0x34f2, v32
	v_mul_f16_e64 v32, 0xb8b4, v128
	v_mul_f16_e64 v33, 0x3a79, v128
	v_fmac_f16_e32 v1, 0x34f2, v14
	v_fmac_f16_e32 v5, 0x34f2, v4
	v_add_f16_e32 v9, v34, v93
	v_fmac_f16_e32 v94, 0x34f2, v39
	v_fmac_f16_e64 v144, 0x34f2, v39
	v_fmac_f16_e32 v99, 0x34f2, v86
	v_fmac_f16_e64 v130, 0x34f2, v38
	v_mul_f16_e64 v34, 0xbb9c, v129
	v_mul_f16_e64 v38, 0x34f2, v129
	v_mul_f16_e32 v39, 0xbb9c, v116
	v_fmac_f16_e64 v40, 0x3b9c, v152
	v_fmac_f16_e32 v8, 0x38b4, v43
	v_fmac_f16_e64 v143, 0x34f2, v2
	v_add_f16_e64 v100, v100, v133
	v_fmac_f16_e32 v125, 0x34f2, v4
	v_add_f16_e64 v4, v123, v135
	v_fmac_f16_e64 v127, 0xb8b4, v141
	v_fmac_f16_e64 v31, 0x38b4, v141
	v_fmac_f16_e64 v132, 0x34f2, v121
	v_fmac_f16_e32 v37, 0x34f2, v121
	v_mul_f16_e32 v42, 0xb8b4, v96
	v_mul_f16_e32 v86, 0x3a79, v96
	v_fmac_f16_e32 v11, 0xb4f2, v90
	v_fmac_f16_e32 v32, 0x3a79, v98
	;; [unrolled: 1-line block ×3, first 2 shown]
	v_mul_f16_e32 v14, 0xb4f2, v97
	v_mul_f16_e32 v97, 0xb8b4, v1
	v_mul_f16_e32 v1, 0xba79, v1
	v_fmac_f16_e32 v34, 0x34f2, v99
	v_fmac_f16_e32 v38, 0x3b9c, v99
	v_fmac_f16_e64 v39, 0xb4f2, v152
	v_add_f16_e32 v96, v91, v40
	v_sub_f16_e32 v40, v91, v40
	v_add_f16_e32 v91, v5, v8
	v_sub_f16_e32 v2, v5, v8
	v_mul_f16_e64 v5, 0xbb9c, v143
	v_mul_f16_e64 v8, 0x34f2, v143
	v_fmac_f16_e32 v41, 0xba79, v43
	v_add_f16_e64 v44, v44, v134
	v_add_f16_e64 v3, v3, v136
	v_fmac_f16_e64 v138, 0x34f2, v13
	v_fmac_f16_e32 v89, 0x34f2, v13
	v_add_f16_e32 v13, v100, v4
	v_fmac_f16_e32 v127, 0x34f2, v122
	v_fmac_f16_e32 v31, 0x34f2, v122
	v_add_f16_e32 v43, v36, v11
	v_sub_f16_e32 v11, v36, v11
	v_add_f16_e32 v36, v94, v32
	v_sub_f16_e32 v32, v94, v32
	v_add_f16_e32 v94, v125, v33
	v_fmac_f16_e64 v42, 0x3a79, v132
	v_fmac_f16_e64 v86, 0x38b4, v132
	v_fmac_f16_e32 v14, 0x3b9c, v90
	v_fmac_f16_e32 v97, 0xba79, v37
	;; [unrolled: 1-line block ×3, first 2 shown]
	v_add_f16_e32 v92, v95, v34
	v_sub_f16_e32 v34, v95, v34
	v_add_f16_e32 v93, v35, v39
	v_add_f16_e32 v95, v126, v38
	v_fmac_f16_e64 v5, 0x34f2, v130
	v_fmac_f16_e64 v8, 0x3b9c, v130
	v_sub_f16_e32 v4, v100, v4
	v_sub_f16_e32 v35, v35, v39
	v_add_f16_e64 v39, v144, v41
	v_sub_f16_e32 v33, v125, v33
	v_sub_f16_e32 v38, v126, v38
	v_sub_f16_e64 v41, v144, v41
	v_add_f16_e32 v37, v9, v10
	v_sub_f16_e32 v9, v9, v10
	v_add_f16_e32 v10, v127, v42
	v_add_f16_e32 v98, v31, v97
	v_sub_f16_e32 v31, v31, v97
	v_add_f16_e32 v97, v44, v3
	v_sub_f16_e32 v3, v44, v3
	v_add_f16_e64 v44, v131, v86
	v_add_f16_e32 v100, v89, v14
	v_sub_f16_e32 v14, v89, v14
	v_add_f16_e32 v89, v12, v1
	v_sub_f16_e32 v1, v12, v1
	v_pack_b32_f16 v6, v13, v6
	v_pack_b32_f16 v12, v36, v94
	v_add_f16_e32 v90, v124, v5
	v_add_f16_e64 v99, v138, v8
	v_pack_b32_f16 v13, v92, v95
	v_pack_b32_f16 v36, v93, v96
	;; [unrolled: 1-line block ×4, first 2 shown]
	v_sub_f16_e32 v42, v127, v42
	v_sub_f16_e32 v5, v124, v5
	v_sub_f16_e64 v86, v131, v86
	v_sub_f16_e64 v8, v138, v8
	v_pack_b32_f16 v7, v32, v33
	v_pack_b32_f16 v32, v34, v38
	;; [unrolled: 1-line block ×4, first 2 shown]
	ds_store_2addr_stride64_b32 v88, v6, v12 offset1:1
	ds_store_2addr_stride64_b32 v88, v13, v36 offset0:2 offset1:3
	ds_store_2addr_stride64_b32 v88, v39, v4 offset0:4 offset1:5
	;; [unrolled: 1-line block ×4, first 2 shown]
	v_pack_b32_f16 v2, v37, v97
	v_pack_b32_f16 v4, v10, v44
	;; [unrolled: 1-line block ×10, first 2 shown]
	ds_store_2addr_stride64_b32 v87, v2, v4 offset1:1
	ds_store_2addr_stride64_b32 v87, v6, v7 offset0:2 offset1:3
	ds_store_2addr_stride64_b32 v87, v10, v3 offset0:4 offset1:5
	;; [unrolled: 1-line block ×4, first 2 shown]
	global_wb scope:SCOPE_SE
	s_wait_dscnt 0x0
	s_barrier_signal -1
	s_barrier_wait -1
	global_inv scope:SCOPE_SE
	ds_load_2addr_stride64_b32 v[1:2], v52 offset1:2
	ds_load_2addr_stride64_b32 v[3:4], v52 offset0:8 offset1:10
	ds_load_2addr_stride64_b32 v[5:6], v52 offset0:20 offset1:22
	;; [unrolled: 1-line block ×9, first 2 shown]
	s_wait_dscnt 0x9
	v_lshrrev_b32_e32 v37, 16, v1
	s_wait_dscnt 0x8
	v_lshrrev_b32_e32 v38, 16, v4
	;; [unrolled: 2-line block ×5, first 2 shown]
	v_mul_f16_e32 v97, v115, v4
	v_mul_f16_e32 v96, v115, v38
	;; [unrolled: 1-line block ×3, first 2 shown]
	v_lshrrev_b32_e32 v43, 16, v6
	s_wait_dscnt 0x4
	v_lshrrev_b32_e32 v44, 16, v11
	v_lshrrev_b32_e32 v87, 16, v10
	v_fmac_f16_e32 v96, v27, v4
	v_fma_f16 v4, v27, v38, -v97
	v_mul_f16_e32 v27, v113, v39
	v_fma_f16 v38, v28, v39, -v99
	v_mul_f16_e32 v39, v114, v40
	v_mul_f16_e32 v97, v114, v8
	;; [unrolled: 1-line block ×4, first 2 shown]
	s_wait_dscnt 0x2
	v_lshrrev_b32_e32 v88, 16, v31
	v_lshrrev_b32_e32 v89, 16, v12
	v_fmac_f16_e32 v27, v28, v5
	v_fmac_f16_e32 v39, v29, v8
	v_fma_f16 v5, v29, v40, -v97
	v_fmac_f16_e32 v99, v18, v9
	v_fma_f16 v8, v18, v42, -v111
	v_mul_f16_e32 v9, v110, v43
	v_mul_f16_e32 v18, v110, v6
	;; [unrolled: 1-line block ×5, first 2 shown]
	s_wait_dscnt 0x1
	v_lshrrev_b32_e32 v91, 16, v33
	v_lshrrev_b32_e32 v92, 16, v32
	s_wait_dscnt 0x0
	v_lshrrev_b32_e32 v93, 16, v35
	v_fmac_f16_e32 v9, v19, v6
	v_fma_f16 v6, v19, v43, -v18
	v_fmac_f16_e32 v28, v20, v11
	v_fma_f16 v11, v20, v44, -v29
	v_fmac_f16_e32 v40, v21, v10
	v_mul_f16_e32 v10, v108, v10
	v_mul_f16_e32 v18, v107, v88
	;; [unrolled: 1-line block ×5, first 2 shown]
	v_lshrrev_b32_e32 v95, 16, v34
	v_lshrrev_b32_e32 v98, 16, v7
	v_fma_f16 v10, v21, v87, -v10
	v_fmac_f16_e32 v18, v22, v31
	v_fma_f16 v19, v22, v88, -v19
	v_fmac_f16_e32 v20, v23, v12
	v_fma_f16 v12, v23, v89, -v29
	v_mul_f16_e32 v21, v105, v91
	v_mul_f16_e32 v22, v105, v33
	v_mul_f16_e32 v23, v104, v92
	v_mul_f16_e32 v29, v104, v32
	v_mul_f16_e32 v31, v103, v93
	v_lshrrev_b32_e32 v41, 16, v2
	v_lshrrev_b32_e32 v100, 16, v36
	v_fmac_f16_e32 v21, v15, v33
	v_fma_f16 v15, v15, v91, -v22
	v_fmac_f16_e32 v23, v16, v32
	v_fma_f16 v16, v16, v92, -v29
	v_fmac_f16_e32 v31, v17, v35
	v_mul_f16_e32 v22, v103, v35
	v_mul_f16_e32 v29, v102, v95
	;; [unrolled: 1-line block ×5, first 2 shown]
	v_fma_f16 v17, v17, v93, -v22
	v_fmac_f16_e32 v29, v24, v34
	v_fma_f16 v22, v24, v95, -v32
	v_fmac_f16_e32 v33, v25, v7
	v_fma_f16 v7, v25, v98, -v35
	v_sub_f16_e32 v24, v1, v27
	v_mul_f16_e32 v25, v101, v100
	v_sub_f16_e32 v27, v96, v39
	v_mul_f16_e32 v32, v101, v36
	v_sub_f16_e32 v34, v37, v38
	v_sub_f16_e32 v5, v4, v5
	;; [unrolled: 1-line block ×6, first 2 shown]
	v_lshrrev_b32_e32 v86, 16, v13
	v_lshrrev_b32_e32 v90, 16, v14
	v_fma_f16 v1, v1, 2.0, -v24
	v_fma_f16 v35, v96, 2.0, -v27
	v_fmac_f16_e32 v25, v26, v36
	v_fma_f16 v26, v26, v100, -v32
	v_fma_f16 v32, v37, 2.0, -v34
	v_fma_f16 v4, v4, 2.0, -v5
	;; [unrolled: 1-line block ×6, first 2 shown]
	v_lshrrev_b32_e32 v94, 16, v3
	v_sub_f16_e32 v35, v1, v35
	v_sub_f16_e32 v4, v32, v4
	;; [unrolled: 1-line block ×16, first 2 shown]
	v_fma_f16 v1, v1, 2.0, -v35
	v_fma_f16 v32, v32, 2.0, -v4
	;; [unrolled: 1-line block ×12, first 2 shown]
	v_add_f16_e32 v11, v9, v11
	v_sub_f16_e32 v28, v6, v28
	v_add_f16_e32 v12, v18, v12
	v_sub_f16_e32 v20, v19, v20
	v_fma_f16 v3, v3, 2.0, -v33
	v_fma_f16 v29, v29, 2.0, -v25
	;; [unrolled: 1-line block ×4, first 2 shown]
	v_sub_f16_e32 v38, v13, v38
	v_sub_f16_e32 v10, v39, v10
	;; [unrolled: 1-line block ×4, first 2 shown]
	v_pack_b32_f16 v1, v1, v32
	v_pack_b32_f16 v2, v2, v36
	v_add_f16_e32 v5, v24, v5
	v_sub_f16_e32 v27, v34, v27
	v_fma_f16 v9, v9, 2.0, -v11
	v_fma_f16 v6, v6, 2.0, -v28
	;; [unrolled: 1-line block ×4, first 2 shown]
	v_sub_f16_e32 v29, v3, v29
	v_sub_f16_e32 v22, v41, v22
	v_add_f16_e32 v17, v23, v17
	v_sub_f16_e32 v31, v16, v31
	v_add_f16_e32 v26, v33, v26
	v_sub_f16_e32 v25, v7, v25
	v_fma_f16 v13, v13, 2.0, -v38
	v_fma_f16 v39, v39, 2.0, -v10
	;; [unrolled: 1-line block ×4, first 2 shown]
	v_pack_b32_f16 v4, v35, v4
	ds_store_2addr_stride64_b32 v52, v1, v2 offset1:2
	v_pack_b32_f16 v2, v37, v8
	v_fma_f16 v24, v24, 2.0, -v5
	v_fma_f16 v34, v34, 2.0, -v27
	;; [unrolled: 1-line block ×4, first 2 shown]
	v_pack_b32_f16 v1, v9, v6
	v_pack_b32_f16 v8, v18, v19
	v_fma_f16 v23, v23, 2.0, -v17
	v_fma_f16 v16, v16, 2.0, -v31
	;; [unrolled: 1-line block ×4, first 2 shown]
	v_pack_b32_f16 v6, v11, v28
	v_pack_b32_f16 v11, v12, v20
	;; [unrolled: 1-line block ×4, first 2 shown]
	ds_store_2addr_stride64_b32 v52, v4, v2 offset0:20 offset1:22
	ds_store_2addr_stride64_b32 v52, v1, v8 offset0:12 offset1:14
	v_pack_b32_f16 v1, v38, v10
	v_pack_b32_f16 v4, v21, v15
	;; [unrolled: 1-line block ×8, first 2 shown]
	ds_store_2addr_stride64_b32 v52, v6, v11 offset0:32 offset1:34
	ds_store_2addr_stride64_b32 v52, v9, v12 offset0:4 offset1:6
	v_pack_b32_f16 v6, v17, v31
	v_pack_b32_f16 v9, v26, v25
	ds_store_2addr_stride64_b32 v52, v1, v4 offset0:24 offset1:26
	ds_store_2addr_stride64_b32 v52, v3, v24 offset0:8 offset1:10
	;; [unrolled: 1-line block ×5, first 2 shown]
	global_wb scope:SCOPE_SE
	s_wait_dscnt 0x0
	s_barrier_signal -1
	s_barrier_wait -1
	global_inv scope:SCOPE_SE
	ds_load_2addr_stride64_b32 v[5:6], v52 offset1:2
	s_wait_dscnt 0x0
	v_lshrrev_b32_e32 v3, 16, v5
	v_mul_f16_e32 v4, v85, v5
	s_delay_alu instid0(VALU_DEP_2) | instskip(NEXT) | instid1(VALU_DEP_2)
	v_mul_f16_e32 v1, v85, v3
	v_fma_f16 v3, v83, v3, -v4
	s_delay_alu instid0(VALU_DEP_2) | instskip(NEXT) | instid1(VALU_DEP_2)
	v_fmac_f16_e32 v1, v83, v5
	v_cvt_f32_f16_e32 v3, v3
	s_delay_alu instid0(VALU_DEP_2) | instskip(NEXT) | instid1(VALU_DEP_2)
	v_cvt_f32_f16_e32 v1, v1
	v_cvt_f64_f32_e32 v[7:8], v3
	ds_load_2addr_stride64_b32 v[3:4], v52 offset0:8 offset1:10
	v_cvt_f64_f32_e32 v[1:2], v1
	s_wait_dscnt 0x0
	v_lshrrev_b32_e32 v5, 16, v4
	s_delay_alu instid0(VALU_DEP_1) | instskip(NEXT) | instid1(VALU_DEP_1)
	v_mul_f16_e32 v9, v84, v5
	v_fmac_f16_e32 v9, v82, v4
	v_mul_f16_e32 v4, v84, v4
	s_delay_alu instid0(VALU_DEP_2) | instskip(NEXT) | instid1(VALU_DEP_2)
	v_cvt_f32_f16_e32 v9, v9
	v_fma_f16 v4, v82, v5, -v4
	v_mul_f64_e32 v[7:8], s[8:9], v[7:8]
	s_delay_alu instid0(VALU_DEP_3) | instskip(SKIP_1) | instid1(VALU_DEP_4)
	v_cvt_f64_f32_e32 v[9:10], v9
	v_mul_f64_e32 v[1:2], s[8:9], v[1:2]
	v_cvt_f32_f16_e32 v4, v4
	s_delay_alu instid0(VALU_DEP_4)
	v_and_or_b32 v7, 0x1ff, v8, v7
	v_bfe_u32 v15, v8, 20, 11
	v_lshrrev_b32_e32 v26, 16, v8
	v_mul_f64_e32 v[9:10], s[8:9], v[9:10]
	v_and_or_b32 v1, 0x1ff, v2, v1
	v_lshrrev_b32_e32 v11, 8, v2
	v_bfe_u32 v12, v2, 20, 11
	v_add_nc_u32_e32 v20, 0xfffffc10, v15
	s_delay_alu instid0(VALU_DEP_4) | instskip(NEXT) | instid1(VALU_DEP_3)
	v_cmp_ne_u32_e32 vcc_lo, 0, v1
	v_add_nc_u32_e32 v17, 0xfffffc10, v12
	s_wait_alu 0xfffd
	v_cndmask_b32_e64 v1, 0, 1, vcc_lo
	v_cmp_ne_u32_e32 vcc_lo, 0, v7
	v_lshrrev_b32_e32 v7, 8, v8
	s_delay_alu instid0(VALU_DEP_3) | instskip(SKIP_3) | instid1(VALU_DEP_3)
	v_and_or_b32 v1, 0xffe, v11, v1
	v_sub_nc_u32_e32 v11, 0x3f1, v12
	s_wait_alu 0xfffd
	v_cndmask_b32_e64 v5, 0, 1, vcc_lo
	v_or_b32_e32 v13, 0x1000, v1
	s_delay_alu instid0(VALU_DEP_3) | instskip(NEXT) | instid1(VALU_DEP_3)
	v_med3_i32 v11, v11, 0, 13
	v_and_or_b32 v7, 0xffe, v7, v5
	v_sub_nc_u32_e32 v5, 0x3f1, v15
	s_delay_alu instid0(VALU_DEP_3) | instskip(NEXT) | instid1(VALU_DEP_2)
	v_lshrrev_b32_e32 v14, v11, v13
	v_med3_i32 v16, v5, 0, 13
	s_delay_alu instid0(VALU_DEP_2) | instskip(NEXT) | instid1(VALU_DEP_1)
	v_lshlrev_b32_e32 v11, v11, v14
	v_cmp_ne_u32_e32 vcc_lo, v11, v13
	v_cvt_f64_f32_e32 v[11:12], v4
	v_and_or_b32 v9, 0x1ff, v10, v9
	v_bfe_u32 v24, v10, 20, 11
	s_wait_alu 0xfffd
	v_cndmask_b32_e64 v13, 0, 1, vcc_lo
	v_cmp_gt_i32_e32 vcc_lo, 1, v17
	s_delay_alu instid0(VALU_DEP_2) | instskip(SKIP_3) | instid1(VALU_DEP_2)
	v_or_b32_e32 v4, v14, v13
	v_lshl_or_b32 v13, v17, 12, v1
	v_or_b32_e32 v14, 0x1000, v7
	s_wait_alu 0xfffd
	v_cndmask_b32_e32 v18, v13, v4, vcc_lo
	s_delay_alu instid0(VALU_DEP_2) | instskip(NEXT) | instid1(VALU_DEP_2)
	v_lshrrev_b32_e32 v19, v16, v14
	v_and_b32_e32 v13, 7, v18
	s_delay_alu instid0(VALU_DEP_2) | instskip(SKIP_2) | instid1(VALU_DEP_4)
	v_lshlrev_b32_e32 v16, v16, v19
	v_lshrrev_b32_e32 v15, 2, v18
	v_lshl_or_b32 v18, v20, 12, v7
	v_cmp_lt_i32_e32 vcc_lo, 5, v13
	v_cmp_eq_u32_e64 s0, 3, v13
	v_cmp_ne_u32_e64 s1, v16, v14
	v_mad_co_u64_u32 v[13:14], null, s6, v30, 0
	s_delay_alu instid0(VALU_DEP_3) | instskip(NEXT) | instid1(VALU_DEP_2)
	s_or_b32 vcc_lo, s0, vcc_lo
	v_cndmask_b32_e64 v16, 0, 1, s1
	s_wait_alu 0xfffe
	v_add_co_ci_u32_e32 v15, vcc_lo, 0, v15, vcc_lo
	v_cmp_ne_u32_e32 vcc_lo, 0, v1
	s_delay_alu instid0(VALU_DEP_4)
	v_mov_b32_e32 v1, v14
	ds_load_2addr_stride64_b32 v[4:5], v52 offset0:20 offset1:22
	v_or_b32_e32 v16, v19, v16
	v_mul_f64_e32 v[11:12], s[8:9], v[11:12]
	s_wait_alu 0xfffd
	v_cndmask_b32_e64 v19, 0, 1, vcc_lo
	v_cmp_gt_i32_e32 vcc_lo, 1, v20
	v_cmp_ne_u32_e64 s0, 0, v9
	s_delay_alu instid0(VALU_DEP_3)
	v_lshl_or_b32 v19, v19, 9, 0x7c00
	s_wait_alu 0xfffd
	v_cndmask_b32_e32 v16, v18, v16, vcc_lo
	v_cmp_gt_i32_e32 vcc_lo, 31, v17
	s_wait_alu 0xf1ff
	v_cndmask_b32_e64 v9, 0, 1, s0
	s_wait_alu 0xfffd
	v_dual_cndmask_b32 v22, 0x7c00, v15 :: v_dual_and_b32 v23, 7, v16
	v_mad_co_u64_u32 v[14:15], null, s7, v30, v[1:2]
	s_mul_u64 s[6:7], s[4:5], 0xa00
	s_delay_alu instid0(VALU_DEP_2)
	v_cmp_lt_i32_e32 vcc_lo, 5, v23
	s_wait_dscnt 0x0
	v_lshrrev_b32_e32 v21, 16, v4
	v_cmp_eq_u32_e64 s0, 3, v23
	v_lshrrev_b32_e32 v23, 2, v16
	v_lshlrev_b64_e32 v[13:14], 2, v[13:14]
	s_delay_alu instid0(VALU_DEP_4) | instskip(NEXT) | instid1(VALU_DEP_4)
	v_mul_f16_e32 v18, v81, v21
	s_or_b32 vcc_lo, s0, vcc_lo
	s_delay_alu instid0(VALU_DEP_1) | instskip(SKIP_1) | instid1(VALU_DEP_2)
	v_fmac_f16_e32 v18, v80, v4
	v_mul_f16_e32 v4, v81, v4
	v_cvt_f32_f16_e32 v1, v18
	v_lshrrev_b32_e32 v18, 8, v10
	s_delay_alu instid0(VALU_DEP_3) | instskip(SKIP_1) | instid1(VALU_DEP_4)
	v_fma_f16 v4, v80, v21, -v4
	v_lshrrev_b32_e32 v21, 16, v2
	v_cvt_f64_f32_e32 v[15:16], v1
	s_delay_alu instid0(VALU_DEP_4)
	v_and_or_b32 v9, 0xffe, v18, v9
	s_wait_alu 0xfffe
	v_add_co_ci_u32_e32 v18, vcc_lo, 0, v23, vcc_lo
	v_cmp_ne_u32_e32 vcc_lo, 0, v7
	v_sub_nc_u32_e32 v1, 0x3f1, v24
	v_or_b32_e32 v23, 0x1000, v9
	v_and_or_b32 v2, 0x1ff, v12, v11
	v_cvt_f32_f16_e32 v11, v4
	s_wait_alu 0xfffd
	v_cndmask_b32_e64 v7, 0, 1, vcc_lo
	v_cmp_eq_u32_e32 vcc_lo, 0x40f, v17
	v_med3_i32 v1, v1, 0, 13
	v_bfe_u32 v27, v12, 20, 11
	v_add_nc_u32_e32 v24, 0xfffffc10, v24
	v_lshl_or_b32 v7, v7, 9, 0x7c00
	s_wait_alu 0xfffd
	v_cndmask_b32_e32 v22, v22, v19, vcc_lo
	v_cmp_gt_i32_e32 vcc_lo, 31, v20
	v_lshrrev_b32_e32 v25, v1, v23
	v_sub_nc_u32_e32 v28, 0x3f1, v27
	s_delay_alu instid0(VALU_DEP_4)
	v_and_or_b32 v21, 0x8000, v21, v22
	s_wait_alu 0xfffd
	v_cndmask_b32_e32 v19, 0x7c00, v18, vcc_lo
	v_cmp_eq_u32_e32 vcc_lo, 0x40f, v20
	v_lshlrev_b32_e32 v1, v1, v25
	v_mad_co_u64_u32 v[17:18], null, s4, v0, 0
	s_wait_alu 0xfffd
	v_dual_cndmask_b32 v20, v19, v7 :: v_dual_and_b32 v21, 0xffff, v21
	v_cmp_ne_u32_e32 vcc_lo, 0, v2
	v_cvt_f64_f32_e32 v[7:8], v11
	v_lshrrev_b32_e32 v11, 8, v12
	v_mov_b32_e32 v4, v18
	s_wait_alu 0xfffd
	v_cndmask_b32_e64 v2, 0, 1, vcc_lo
	v_cmp_ne_u32_e32 vcc_lo, v1, v23
	s_delay_alu instid0(VALU_DEP_3) | instskip(NEXT) | instid1(VALU_DEP_3)
	v_mad_co_u64_u32 v[18:19], null, s5, v0, v[4:5]
	v_and_or_b32 v11, 0xffe, v11, v2
	ds_load_2addr_stride64_b32 v[1:2], v52 offset0:28 offset1:30
	s_wait_alu 0xfffd
	v_cndmask_b32_e64 v23, 0, 1, vcc_lo
	v_mul_f64_e32 v[15:16], s[8:9], v[15:16]
	v_lshl_or_b32 v4, v24, 12, v9
	v_cmp_gt_i32_e32 vcc_lo, 1, v24
	v_or_b32_e32 v19, 0x1000, v11
	v_or_b32_e32 v0, v25, v23
	v_med3_i32 v23, v28, 0, 13
	s_wait_alu 0xfffd
	s_delay_alu instid0(VALU_DEP_2) | instskip(SKIP_1) | instid1(VALU_DEP_3)
	v_cndmask_b32_e32 v0, v4, v0, vcc_lo
	v_and_or_b32 v4, 0x8000, v26, v20
	v_lshrrev_b32_e32 v20, v23, v19
	s_delay_alu instid0(VALU_DEP_3) | instskip(NEXT) | instid1(VALU_DEP_3)
	v_and_b32_e32 v22, 7, v0
	v_lshl_or_b32 v4, v4, 16, v21
	s_delay_alu instid0(VALU_DEP_3)
	v_lshlrev_b32_e32 v23, v23, v20
	v_lshrrev_b32_e32 v0, 2, v0
	s_wait_dscnt 0x0
	v_lshrrev_b32_e32 v21, 16, v2
	v_cmp_lt_i32_e32 vcc_lo, 5, v22
	v_cmp_eq_u32_e64 s0, 3, v22
	v_cmp_ne_u32_e64 s1, v23, v19
	v_add_nc_u32_e32 v23, 0xfffffc10, v27
	v_mul_f16_e32 v22, v79, v21
	s_delay_alu instid0(VALU_DEP_4) | instskip(NEXT) | instid1(VALU_DEP_3)
	s_or_b32 vcc_lo, s0, vcc_lo
	v_cndmask_b32_e64 v19, 0, 1, s1
	s_wait_alu 0xfffe
	v_add_co_ci_u32_e32 v0, vcc_lo, 0, v0, vcc_lo
	v_fmac_f16_e32 v22, v78, v2
	v_cmp_ne_u32_e32 vcc_lo, 0, v9
	v_mul_f64_e32 v[7:8], s[8:9], v[7:8]
	v_or_b32_e32 v19, v20, v19
	v_lshl_or_b32 v20, v23, 12, v11
	v_cvt_f32_f16_e32 v22, v22
	s_wait_alu 0xfffd
	v_cndmask_b32_e64 v9, 0, 1, vcc_lo
	v_cmp_gt_i32_e32 vcc_lo, 1, v23
	v_mul_f16_e32 v2, v79, v2
	v_and_or_b32 v15, 0x1ff, v16, v15
	v_lshrrev_b32_e32 v27, 8, v16
	v_lshl_or_b32 v9, v9, 9, 0x7c00
	s_wait_alu 0xfffd
	v_cndmask_b32_e32 v25, v20, v19, vcc_lo
	v_cvt_f64_f32_e32 v[19:20], v22
	v_add_co_u32 v22, vcc_lo, s10, v13
	s_wait_alu 0xfffd
	v_add_co_ci_u32_e32 v26, vcc_lo, s11, v14, vcc_lo
	v_cmp_gt_i32_e32 vcc_lo, 31, v24
	v_and_b32_e32 v29, 7, v25
	v_bfe_u32 v28, v16, 20, 11
	v_lshlrev_b64_e32 v[13:14], 2, v[17:18]
	v_fma_f16 v2, v78, v21, -v2
	s_wait_alu 0xfffd
	v_cndmask_b32_e32 v0, 0x7c00, v0, vcc_lo
	v_cmp_ne_u32_e32 vcc_lo, 0, v15
	v_cmp_eq_u32_e64 s0, 3, v29
	v_sub_nc_u32_e32 v17, 0x3f1, v28
	v_cvt_f32_f16_e32 v2, v2
	s_wait_alu 0xfffd
	v_cndmask_b32_e64 v15, 0, 1, vcc_lo
	v_cmp_eq_u32_e32 vcc_lo, 0x40f, v24
	s_delay_alu instid0(VALU_DEP_2)
	v_and_or_b32 v15, 0xffe, v27, v15
	s_wait_alu 0xfffd
	v_cndmask_b32_e32 v0, v0, v9, vcc_lo
	v_cmp_lt_i32_e32 vcc_lo, 5, v29
	v_lshrrev_b32_e32 v27, 16, v10
	v_lshrrev_b32_e32 v10, 2, v25
	v_or_b32_e32 v24, 0x1000, v15
	v_med3_i32 v9, v17, 0, 13
	s_or_b32 vcc_lo, s0, vcc_lo
	v_and_or_b32 v7, 0x1ff, v8, v7
	s_wait_alu 0xfffe
	v_add_co_ci_u32_e32 v10, vcc_lo, 0, v10, vcc_lo
	v_cmp_ne_u32_e32 vcc_lo, 0, v11
	v_lshrrev_b32_e32 v25, v9, v24
	v_cvt_f64_f32_e32 v[17:18], v2
	v_lshrrev_b32_e32 v30, 8, v8
	v_and_or_b32 v0, 0x8000, v27, v0
	s_wait_alu 0xfffd
	v_cndmask_b32_e64 v11, 0, 1, vcc_lo
	v_cmp_gt_i32_e32 vcc_lo, 31, v23
	v_lshlrev_b32_e32 v21, v9, v25
	v_and_b32_e32 v0, 0xffff, v0
	s_delay_alu instid0(VALU_DEP_4)
	v_lshl_or_b32 v11, v11, 9, 0x7c00
	s_wait_alu 0xfffd
	v_cndmask_b32_e32 v29, 0x7c00, v10, vcc_lo
	v_cmp_ne_u32_e32 vcc_lo, 0, v7
	v_mul_f64_e32 v[9:10], s[8:9], v[19:20]
	v_bfe_u32 v19, v8, 20, 11
	s_wait_alu 0xfffd
	v_cndmask_b32_e64 v7, 0, 1, vcc_lo
	v_cmp_ne_u32_e32 vcc_lo, v21, v24
	s_delay_alu instid0(VALU_DEP_3)
	v_sub_nc_u32_e32 v20, 0x3f1, v19
	v_add_nc_u32_e32 v21, 0xfffffc10, v28
	v_lshrrev_b32_e32 v28, 16, v12
	v_and_or_b32 v7, 0xffe, v30, v7
	s_wait_alu 0xfffd
	v_cndmask_b32_e64 v2, 0, 1, vcc_lo
	v_cmp_eq_u32_e32 vcc_lo, 0x40f, v23
	v_med3_i32 v20, v20, 0, 13
	v_add_nc_u32_e32 v19, 0xfffffc10, v19
	v_or_b32_e32 v24, 0x1000, v7
	v_or_b32_e32 v2, v25, v2
	v_lshl_or_b32 v25, v21, 12, v15
	s_wait_alu 0xfffd
	v_cndmask_b32_e32 v23, v29, v11, vcc_lo
	v_cmp_gt_i32_e32 vcc_lo, 1, v21
	v_lshrrev_b32_e32 v27, v20, v24
	v_cmp_eq_u32_e64 s1, 0x40f, v21
	s_wait_alu 0xfffd
	v_cndmask_b32_e32 v2, v25, v2, vcc_lo
	v_add_co_u32 v11, vcc_lo, v22, v13
	s_wait_alu 0xfffd
	v_add_co_ci_u32_e32 v12, vcc_lo, v26, v14, vcc_lo
	v_lshrrev_b32_e32 v22, 16, v6
	v_lshlrev_b32_e32 v20, v20, v27
	v_and_or_b32 v13, 0x8000, v28, v23
	v_and_b32_e32 v14, 7, v2
	global_store_b32 v[11:12], v4, off
	v_mul_f16_e32 v4, v77, v22
	v_cmp_ne_u32_e64 s0, v20, v24
	v_lshl_or_b32 v0, v13, 16, v0
	v_cmp_lt_i32_e32 vcc_lo, 5, v14
	v_lshrrev_b32_e32 v2, 2, v2
	v_fmac_f16_e32 v4, v76, v6
	s_wait_alu 0xf1ff
	v_cndmask_b32_e64 v13, 0, 1, s0
	v_cmp_eq_u32_e64 s0, 3, v14
	v_and_or_b32 v9, 0x1ff, v10, v9
	v_lshl_or_b32 v23, v19, 12, v7
	v_cvt_f32_f16_e32 v4, v4
	v_or_b32_e32 v20, v27, v13
	v_mul_f64_e32 v[13:14], s[8:9], v[17:18]
	s_or_b32 vcc_lo, s0, vcc_lo
	v_mul_f16_e32 v6, v77, v6
	s_wait_alu 0xfffe
	v_add_co_ci_u32_e32 v2, vcc_lo, 0, v2, vcc_lo
	v_cmp_gt_i32_e32 vcc_lo, 1, v19
	v_cvt_f64_f32_e32 v[17:18], v4
	v_fma_f16 v6, v76, v22, -v6
	s_wait_alu 0xfffd
	v_cndmask_b32_e32 v4, v23, v20, vcc_lo
	v_cmp_ne_u32_e32 vcc_lo, 0, v9
	v_lshrrev_b32_e32 v20, 8, v10
	v_bfe_u32 v23, v10, 20, 11
	v_cvt_f32_f16_e32 v6, v6
	v_and_b32_e32 v24, 7, v4
	s_wait_alu 0xfffd
	v_cndmask_b32_e64 v9, 0, 1, vcc_lo
	v_cmp_ne_u32_e32 vcc_lo, 0, v15
	v_lshrrev_b32_e32 v4, 2, v4
	v_add_nc_u32_e32 v22, 0xfffffc10, v23
	v_cmp_eq_u32_e64 s0, 3, v24
	v_and_or_b32 v20, 0xffe, v20, v9
	v_sub_nc_u32_e32 v9, 0x3f1, v23
	s_wait_alu 0xfffd
	v_cndmask_b32_e64 v15, 0, 1, vcc_lo
	v_cmp_gt_i32_e32 vcc_lo, 31, v21
	v_lshrrev_b32_e32 v21, 16, v16
	v_or_b32_e32 v25, 0x1000, v20
	v_med3_i32 v9, v9, 0, 13
	v_lshl_or_b32 v15, v15, 9, 0x7c00
	s_wait_alu 0xfffd
	v_cndmask_b32_e32 v2, 0x7c00, v2, vcc_lo
	v_cmp_lt_i32_e32 vcc_lo, 5, v24
	v_lshrrev_b32_e32 v24, v9, v25
	s_delay_alu instid0(VALU_DEP_3)
	v_cndmask_b32_e64 v2, v2, v15, s1
	s_or_b32 vcc_lo, s0, vcc_lo
	s_wait_alu 0xfffe
	v_add_co_ci_u32_e32 v4, vcc_lo, 0, v4, vcc_lo
	v_lshlrev_b32_e32 v9, v9, v24
	v_cmp_gt_i32_e32 vcc_lo, 31, v19
	v_and_or_b32 v13, 0x1ff, v14, v13
	v_bfe_u32 v23, v14, 20, 11
	v_and_or_b32 v2, 0x8000, v21, v2
	v_mul_f64_e32 v[15:16], s[8:9], v[17:18]
	s_wait_alu 0xfffd
	v_cndmask_b32_e32 v4, 0x7c00, v4, vcc_lo
	v_cmp_ne_u32_e32 vcc_lo, v9, v25
	v_cvt_f64_f32_e32 v[17:18], v6
	v_lshrrev_b32_e32 v6, 8, v14
	v_and_b32_e32 v2, 0xffff, v2
	s_wait_alu 0xfffd
	v_cndmask_b32_e64 v9, 0, 1, vcc_lo
	v_cmp_ne_u32_e32 vcc_lo, 0, v13
	s_delay_alu instid0(VALU_DEP_2) | instskip(SKIP_4) | instid1(VALU_DEP_3)
	v_or_b32_e32 v9, v24, v9
	s_wait_alu 0xfffd
	v_cndmask_b32_e64 v13, 0, 1, vcc_lo
	v_cmp_ne_u32_e32 vcc_lo, 0, v7
	v_lshl_or_b32 v24, v22, 12, v20
	v_and_or_b32 v13, 0xffe, v6, v13
	s_wait_alu 0xfffd
	v_cndmask_b32_e64 v7, 0, 1, vcc_lo
	v_cmp_gt_i32_e32 vcc_lo, 1, v22
	v_sub_nc_u32_e32 v6, 0x3f1, v23
	v_or_b32_e32 v25, 0x1000, v13
	s_delay_alu instid0(VALU_DEP_4)
	v_lshl_or_b32 v7, v7, 9, 0x7c00
	s_wait_alu 0xfffd
	v_cndmask_b32_e32 v24, v24, v9, vcc_lo
	v_cmp_eq_u32_e32 vcc_lo, 0x40f, v19
	v_med3_i32 v26, v6, 0, 13
	v_lshrrev_b32_e32 v19, 16, v8
	s_wait_alu 0xfffd
	v_dual_cndmask_b32 v4, v4, v7 :: v_dual_and_b32 v21, 7, v24
	v_add_co_u32 v8, vcc_lo, v11, s6
	ds_load_2addr_stride64_b32 v[6:7], v52 offset0:12 offset1:14
	v_lshrrev_b32_e32 v27, v26, v25
	s_wait_alu 0xfffd
	v_add_co_ci_u32_e32 v9, vcc_lo, s7, v12, vcc_lo
	v_cmp_lt_i32_e32 vcc_lo, 5, v21
	v_cmp_eq_u32_e64 s0, 3, v21
	v_lshrrev_b32_e32 v12, 2, v24
	v_lshlrev_b32_e32 v11, v26, v27
	global_store_b32 v[8:9], v0, off
	v_and_or_b32 v4, 0x8000, v19, v4
	s_or_b32 vcc_lo, s0, vcc_lo
	v_and_or_b32 v15, 0x1ff, v16, v15
	s_wait_alu 0xfffe
	v_add_co_ci_u32_e32 v0, vcc_lo, 0, v12, vcc_lo
	v_cmp_ne_u32_e32 vcc_lo, v11, v25
	v_add_nc_u32_e32 v21, 0xfffffc10, v23
	v_mul_f64_e32 v[11:12], s[8:9], v[17:18]
	v_lshrrev_b32_e32 v24, 8, v16
	v_bfe_u32 v25, v16, 20, 11
	s_wait_alu 0xfffd
	v_cndmask_b32_e64 v19, 0, 1, vcc_lo
	v_cmp_gt_i32_e32 vcc_lo, 31, v22
	s_wait_dscnt 0x0
	v_lshrrev_b32_e32 v23, 16, v6
	v_lshl_or_b32 v2, v4, 16, v2
	v_lshrrev_b32_e32 v16, 16, v16
	v_or_b32_e32 v17, v27, v19
	s_wait_alu 0xfffd
	v_cndmask_b32_e32 v0, 0x7c00, v0, vcc_lo
	v_cmp_ne_u32_e32 vcc_lo, 0, v15
	v_mul_f16_e32 v18, v75, v23
	v_lshl_or_b32 v19, v21, 12, v13
	s_wait_alu 0xfffd
	v_cndmask_b32_e64 v15, 0, 1, vcc_lo
	v_cmp_ne_u32_e32 vcc_lo, 0, v20
	v_fmac_f16_e32 v18, v74, v6
	v_mul_f16_e32 v6, v75, v6
	s_delay_alu instid0(VALU_DEP_4)
	v_and_or_b32 v15, 0xffe, v24, v15
	s_wait_alu 0xfffd
	v_cndmask_b32_e64 v20, 0, 1, vcc_lo
	v_cmp_gt_i32_e32 vcc_lo, 1, v21
	v_sub_nc_u32_e32 v24, 0x3f1, v25
	v_cvt_f32_f16_e32 v18, v18
	v_or_b32_e32 v26, 0x1000, v15
	v_lshl_or_b32 v20, v20, 9, 0x7c00
	s_wait_alu 0xfffd
	v_cndmask_b32_e32 v19, v19, v17, vcc_lo
	v_med3_i32 v24, v24, 0, 13
	v_cvt_f64_f32_e32 v[17:18], v18
	v_cmp_eq_u32_e32 vcc_lo, 0x40f, v22
	v_fma_f16 v4, v74, v23, -v6
	v_and_b32_e32 v27, 7, v19
	v_lshrrev_b32_e32 v6, v24, v26
	v_lshrrev_b32_e32 v23, 2, v19
	s_wait_alu 0xfffd
	v_cndmask_b32_e32 v0, v0, v20, vcc_lo
	v_cvt_f32_f16_e32 v4, v4
	v_cmp_lt_i32_e32 vcc_lo, 5, v27
	v_cmp_eq_u32_e64 s0, 3, v27
	v_lshlrev_b32_e32 v22, v24, v6
	v_lshrrev_b32_e32 v24, 16, v10
	v_cvt_f64_f32_e32 v[19:20], v4
	v_and_or_b32 v11, 0x1ff, v12, v11
	s_or_b32 vcc_lo, s0, vcc_lo
	s_wait_alu 0xfffe
	v_add_co_ci_u32_e32 v4, vcc_lo, 0, v23, vcc_lo
	v_cmp_ne_u32_e32 vcc_lo, v22, v26
	v_add_nc_u32_e32 v22, 0xfffffc10, v25
	v_lshrrev_b32_e32 v23, 8, v12
	v_bfe_u32 v25, v12, 20, 11
	v_and_or_b32 v0, 0x8000, v24, v0
	s_wait_alu 0xfffd
	v_cndmask_b32_e64 v10, 0, 1, vcc_lo
	v_cmp_ne_u32_e32 vcc_lo, 0, v13
	v_sub_nc_u32_e32 v26, 0x3f1, v25
	v_and_b32_e32 v0, 0xffff, v0
	s_delay_alu instid0(VALU_DEP_4) | instskip(SKIP_4) | instid1(VALU_DEP_3)
	v_or_b32_e32 v6, v6, v10
	s_wait_alu 0xfffd
	v_cndmask_b32_e64 v13, 0, 1, vcc_lo
	v_cmp_ne_u32_e32 vcc_lo, 0, v11
	v_lshl_or_b32 v10, v22, 12, v15
	v_lshl_or_b32 v13, v13, 9, 0x7c00
	s_wait_alu 0xfffd
	v_cndmask_b32_e64 v11, 0, 1, vcc_lo
	v_cmp_gt_i32_e32 vcc_lo, 31, v21
	s_delay_alu instid0(VALU_DEP_2)
	v_and_or_b32 v23, 0xffe, v23, v11
	s_wait_alu 0xfffd
	v_cndmask_b32_e32 v4, 0x7c00, v4, vcc_lo
	v_cmp_gt_i32_e32 vcc_lo, 1, v22
	s_wait_alu 0xfffd
	v_cndmask_b32_e32 v6, v10, v6, vcc_lo
	v_mul_f64_e32 v[10:11], s[8:9], v[17:18]
	v_or_b32_e32 v17, 0x1000, v23
	v_med3_i32 v18, v26, 0, 13
	v_cmp_eq_u32_e32 vcc_lo, 0x40f, v21
	v_and_b32_e32 v21, 7, v6
	v_lshrrev_b32_e32 v6, 2, v6
	s_delay_alu instid0(VALU_DEP_4)
	v_lshrrev_b32_e32 v24, v18, v17
	s_wait_alu 0xfffd
	v_cndmask_b32_e32 v4, v4, v13, vcc_lo
	v_lshrrev_b32_e32 v13, 16, v14
	v_add_co_u32 v8, vcc_lo, v8, s6
	v_lshlrev_b32_e32 v18, v18, v24
	s_wait_alu 0xfffd
	v_add_co_ci_u32_e32 v9, vcc_lo, s7, v9, vcc_lo
	v_and_or_b32 v4, 0x8000, v13, v4
	v_mul_f64_e32 v[13:14], s[8:9], v[19:20]
	v_cmp_ne_u32_e64 s1, v18, v17
	v_cmp_lt_i32_e32 vcc_lo, 5, v21
	v_cmp_eq_u32_e64 s0, 3, v21
	v_lshrrev_b32_e32 v19, 16, v5
	global_store_b32 v[8:9], v2, off
	s_wait_alu 0xf1ff
	v_cndmask_b32_e64 v2, 0, 1, s1
	v_add_nc_u32_e32 v21, 0xfffffc10, v25
	s_or_b32 vcc_lo, s0, vcc_lo
	v_mul_f16_e32 v17, v73, v19
	s_wait_alu 0xfffe
	v_add_co_ci_u32_e32 v6, vcc_lo, 0, v6, vcc_lo
	v_lshl_or_b32 v0, v4, 16, v0
	v_or_b32_e32 v2, v24, v2
	v_lshl_or_b32 v4, v21, 12, v23
	v_cmp_gt_i32_e32 vcc_lo, 1, v21
	v_fmac_f16_e32 v17, v72, v5
	v_mul_f16_e32 v5, v73, v5
	s_wait_alu 0xfffd
	v_cndmask_b32_e32 v2, v4, v2, vcc_lo
	v_cmp_ne_u32_e32 vcc_lo, 0, v15
	v_and_or_b32 v10, 0x1ff, v11, v10
	v_cvt_f32_f16_e32 v4, v17
	v_bfe_u32 v24, v11, 20, 11
	v_and_b32_e32 v20, 7, v2
	s_wait_alu 0xfffd
	v_cndmask_b32_e64 v15, 0, 1, vcc_lo
	v_cmp_gt_i32_e32 vcc_lo, 31, v22
	v_cmp_ne_u32_e64 s1, 0, v10
	v_cvt_f64_f32_e32 v[17:18], v4
	v_cmp_eq_u32_e64 s0, 3, v20
	v_lshrrev_b32_e32 v2, 2, v2
	s_wait_alu 0xfffd
	v_cndmask_b32_e32 v4, 0x7c00, v6, vcc_lo
	v_cmp_lt_i32_e32 vcc_lo, 5, v20
	v_lshl_or_b32 v6, v15, 9, 0x7c00
	s_wait_alu 0xf1ff
	v_cndmask_b32_e64 v10, 0, 1, s1
	v_lshrrev_b32_e32 v15, 8, v11
	v_fma_f16 v5, v72, v19, -v5
	s_or_b32 vcc_lo, s0, vcc_lo
	v_lshrrev_b32_e32 v19, 8, v14
	s_wait_alu 0xfffe
	v_add_co_ci_u32_e32 v2, vcc_lo, 0, v2, vcc_lo
	v_and_or_b32 v25, 0xffe, v15, v10
	v_and_or_b32 v10, 0x1ff, v14, v13
	v_sub_nc_u32_e32 v13, 0x3f1, v24
	v_cmp_gt_i32_e32 vcc_lo, 31, v21
	v_cvt_f32_f16_e32 v5, v5
	v_or_b32_e32 v15, 0x1000, v25
	v_bfe_u32 v26, v14, 20, 11
	v_med3_i32 v13, v13, 0, 13
	s_wait_alu 0xfffd
	v_cndmask_b32_e32 v2, 0x7c00, v2, vcc_lo
	v_cmp_ne_u32_e32 vcc_lo, 0, v10
	v_lshrrev_b32_e32 v11, 16, v11
	v_lshrrev_b32_e32 v14, 16, v14
	s_wait_alu 0xfffd
	v_cndmask_b32_e64 v10, 0, 1, vcc_lo
	v_cmp_ne_u32_e32 vcc_lo, 0, v23
	v_lshrrev_b32_e32 v23, v13, v15
	s_delay_alu instid0(VALU_DEP_3) | instskip(SKIP_2) | instid1(VALU_DEP_3)
	v_and_or_b32 v27, 0xffe, v19, v10
	s_wait_alu 0xfffd
	v_cndmask_b32_e64 v20, 0, 1, vcc_lo
	v_lshlrev_b32_e32 v13, v13, v23
	v_cmp_eq_u32_e32 vcc_lo, 0x40f, v22
	v_sub_nc_u32_e32 v10, 0x3f1, v26
	v_or_b32_e32 v29, 0x1000, v27
	v_lshl_or_b32 v28, v20, 9, 0x7c00
	v_cvt_f64_f32_e32 v[19:20], v5
	s_wait_alu 0xfffd
	v_cndmask_b32_e32 v4, v4, v6, vcc_lo
	v_cmp_eq_u32_e32 vcc_lo, 0x40f, v21
	v_med3_i32 v10, v10, 0, 13
	v_mul_f64_e32 v[17:18], s[8:9], v[17:18]
	v_add_nc_u32_e32 v22, 0xfffffc10, v24
	ds_load_2addr_stride64_b32 v[5:6], v52 offset0:32 offset1:34
	s_wait_alu 0xfffd
	v_cndmask_b32_e32 v2, v2, v28, vcc_lo
	v_cmp_ne_u32_e32 vcc_lo, v13, v15
	v_lshrrev_b32_e32 v21, v10, v29
	v_lshrrev_b32_e32 v15, 16, v12
	v_lshl_or_b32 v24, v22, 12, v25
	v_and_or_b32 v4, 0x8000, v16, v4
	s_wait_alu 0xfffd
	v_cndmask_b32_e64 v13, 0, 1, vcc_lo
	v_add_co_u32 v12, vcc_lo, v8, s6
	v_lshlrev_b32_e32 v10, v10, v21
	v_and_or_b32 v2, 0x8000, v15, v2
	s_delay_alu instid0(VALU_DEP_4)
	v_or_b32_e32 v23, v23, v13
	s_wait_alu 0xfffd
	v_add_co_ci_u32_e32 v13, vcc_lo, s7, v9, vcc_lo
	v_cmp_gt_i32_e32 vcc_lo, 1, v22
	v_and_b32_e32 v4, 0xffff, v4
	global_store_b32 v[12:13], v0, off
	s_wait_alu 0xfffd
	v_cndmask_b32_e32 v8, v24, v23, vcc_lo
	v_cmp_ne_u32_e32 vcc_lo, v10, v29
	v_add_nc_u32_e32 v23, 0xfffffc10, v26
	v_lshl_or_b32 v0, v2, 16, v4
	s_wait_dscnt 0x0
	v_lshrrev_b32_e32 v2, 16, v5
	v_and_b32_e32 v10, 7, v8
	s_wait_alu 0xfffd
	v_cndmask_b32_e64 v9, 0, 1, vcc_lo
	v_cmp_gt_i32_e64 s1, 1, v23
	v_lshrrev_b32_e32 v8, 2, v8
	v_mul_f16_e32 v15, v71, v2
	v_cmp_lt_i32_e32 vcc_lo, 5, v10
	v_or_b32_e32 v4, v21, v9
	v_lshl_or_b32 v9, v23, 12, v27
	v_cmp_eq_u32_e64 s0, 3, v10
	v_fmac_f16_e32 v15, v70, v5
	v_mul_f16_e32 v5, v71, v5
	v_and_or_b32 v16, 0x1ff, v18, v17
	s_wait_alu 0xf1ff
	v_cndmask_b32_e64 v4, v9, v4, s1
	v_mul_f64_e32 v[9:10], s[8:9], v[19:20]
	v_cvt_f32_f16_e32 v15, v15
	s_or_b32 vcc_lo, s0, vcc_lo
	v_cmp_ne_u32_e64 s1, 0, v16
	v_and_b32_e32 v17, 7, v4
	s_wait_alu 0xfffe
	v_add_co_ci_u32_e32 v8, vcc_lo, 0, v8, vcc_lo
	v_cvt_f64_f32_e32 v[15:16], v15
	v_lshrrev_b32_e32 v4, 2, v4
	v_cmp_lt_i32_e32 vcc_lo, 5, v17
	v_cmp_eq_u32_e64 s0, 3, v17
	s_wait_alu 0xf1ff
	v_cndmask_b32_e64 v17, 0, 1, s1
	v_lshrrev_b32_e32 v19, 8, v18
	v_bfe_u32 v21, v18, 20, 11
	v_cmp_ne_u32_e64 s1, 0, v25
	s_or_b32 vcc_lo, s0, vcc_lo
	v_fma_f16 v2, v70, v2, -v5
	s_wait_alu 0xfffe
	v_add_co_ci_u32_e32 v4, vcc_lo, 0, v4, vcc_lo
	v_cmp_gt_i32_e32 vcc_lo, 31, v22
	v_cndmask_b32_e64 v20, 0, 1, s1
	v_and_or_b32 v17, 0xffe, v19, v17
	v_sub_nc_u32_e32 v19, 0x3f1, v21
	v_cvt_f32_f16_e32 v2, v2
	s_wait_alu 0xfffd
	v_cndmask_b32_e32 v8, 0x7c00, v8, vcc_lo
	v_cmp_ne_u32_e32 vcc_lo, 0, v27
	v_or_b32_e32 v24, 0x1000, v17
	v_med3_i32 v19, v19, 0, 13
	v_lshl_or_b32 v20, v20, 9, 0x7c00
	v_lshrrev_b32_e32 v18, 16, v18
	s_wait_alu 0xfffd
	v_cndmask_b32_e64 v25, 0, 1, vcc_lo
	v_cmp_gt_i32_e32 vcc_lo, 31, v23
	v_lshrrev_b32_e32 v26, v19, v24
	s_delay_alu instid0(VALU_DEP_3)
	v_lshl_or_b32 v25, v25, 9, 0x7c00
	s_wait_alu 0xfffd
	v_cndmask_b32_e32 v27, 0x7c00, v4, vcc_lo
	v_cmp_eq_u32_e32 vcc_lo, 0x40f, v22
	v_and_or_b32 v4, 0x1ff, v10, v9
	v_lshlrev_b32_e32 v28, v19, v26
	v_lshrrev_b32_e32 v30, 8, v10
	v_bfe_u32 v31, v10, 20, 11
	s_wait_alu 0xfffd
	v_cndmask_b32_e32 v22, v8, v20, vcc_lo
	v_cmp_ne_u32_e32 vcc_lo, 0, v4
	v_cvt_f64_f32_e32 v[19:20], v2
	ds_load_2addr_stride64_b32 v[4:5], v52 offset0:4 offset1:6
	v_mul_f64_e32 v[8:9], s[8:9], v[15:16]
	v_sub_nc_u32_e32 v15, 0x3f1, v31
	s_wait_alu 0xfffd
	v_cndmask_b32_e64 v29, 0, 1, vcc_lo
	v_cmp_eq_u32_e32 vcc_lo, 0x40f, v23
	v_and_or_b32 v11, 0x8000, v11, v22
	v_lshrrev_b32_e32 v10, 16, v10
	v_med3_i32 v15, v15, 0, 13
	v_and_or_b32 v2, 0xffe, v30, v29
	s_wait_alu 0xfffd
	v_cndmask_b32_e32 v23, v27, v25, vcc_lo
	v_cmp_ne_u32_e32 vcc_lo, v28, v24
	s_delay_alu instid0(VALU_DEP_3) | instskip(NEXT) | instid1(VALU_DEP_3)
	v_or_b32_e32 v24, 0x1000, v2
	v_and_or_b32 v14, 0x8000, v14, v23
	s_wait_alu 0xfffd
	v_cndmask_b32_e64 v16, 0, 1, vcc_lo
	v_and_b32_e32 v23, 0xffff, v11
	v_lshrrev_b32_e32 v22, v15, v24
	s_delay_alu instid0(VALU_DEP_3) | instskip(SKIP_1) | instid1(VALU_DEP_4)
	v_or_b32_e32 v16, v26, v16
	v_add_nc_u32_e32 v21, 0xfffffc10, v21
	v_lshl_or_b32 v23, v14, 16, v23
	s_delay_alu instid0(VALU_DEP_4) | instskip(NEXT) | instid1(VALU_DEP_3)
	v_lshlrev_b32_e32 v15, v15, v22
	v_lshl_or_b32 v25, v21, 12, v17
	v_cmp_gt_i32_e32 vcc_lo, 1, v21
	s_delay_alu instid0(VALU_DEP_3)
	v_cmp_ne_u32_e64 s0, v15, v24
	v_add_nc_u32_e32 v24, 0xfffffc10, v31
	s_wait_alu 0xfffd
	v_cndmask_b32_e32 v16, v25, v16, vcc_lo
	s_wait_dscnt 0x0
	v_lshrrev_b32_e32 v25, 16, v4
	v_add_co_u32 v11, vcc_lo, v12, s2
	s_wait_alu 0xfffd
	v_add_co_ci_u32_e32 v12, vcc_lo, s3, v13, vcc_lo
	v_and_b32_e32 v26, 7, v16
	v_mul_f16_e32 v27, v69, v25
	s_wait_alu 0xf1ff
	v_cndmask_b32_e64 v13, 0, 1, s0
	v_and_or_b32 v8, 0x1ff, v9, v8
	v_cmp_gt_i32_e64 s1, 1, v24
	v_cmp_lt_i32_e32 vcc_lo, 5, v26
	v_fmac_f16_e32 v27, v68, v4
	v_cmp_eq_u32_e64 s0, 3, v26
	v_lshrrev_b32_e32 v26, 2, v16
	v_or_b32_e32 v22, v22, v13
	v_mul_f64_e32 v[13:14], s[8:9], v[19:20]
	v_cvt_f32_f16_e32 v15, v27
	s_or_b32 vcc_lo, s0, vcc_lo
	v_lshl_or_b32 v27, v24, 12, v2
	s_wait_alu 0xfffe
	v_add_co_ci_u32_e32 v20, vcc_lo, 0, v26, vcc_lo
	v_cmp_ne_u32_e32 vcc_lo, 0, v17
	v_cvt_f64_f32_e32 v[15:16], v15
	v_cndmask_b32_e64 v19, v27, v22, s1
	v_lshrrev_b32_e32 v26, 8, v9
	v_bfe_u32 v27, v9, 20, 11
	s_wait_alu 0xfffd
	v_cndmask_b32_e64 v17, 0, 1, vcc_lo
	v_cmp_ne_u32_e32 vcc_lo, 0, v8
	v_and_b32_e32 v22, 7, v19
	v_cmp_eq_u32_e64 s1, 0x40f, v21
	v_mul_f16_e32 v4, v69, v4
	v_lshrrev_b32_e32 v19, 2, v19
	s_wait_alu 0xfffd
	v_cndmask_b32_e64 v8, 0, 1, vcc_lo
	v_cmp_gt_i32_e32 vcc_lo, 31, v21
	v_cmp_eq_u32_e64 s0, 3, v22
	v_lshl_or_b32 v17, v17, 9, 0x7c00
	v_fma_f16 v4, v68, v25, -v4
	v_and_or_b32 v8, 0xffe, v26, v8
	v_sub_nc_u32_e32 v26, 0x3f1, v27
	global_store_b32 v[11:12], v0, off
	v_lshrrev_b32_e32 v9, 16, v9
	v_cvt_f32_f16_e32 v4, v4
	v_med3_i32 v21, v26, 0, 13
	s_wait_alu 0xfffd
	v_cndmask_b32_e32 v20, 0x7c00, v20, vcc_lo
	v_cmp_lt_i32_e32 vcc_lo, 5, v22
	s_wait_alu 0xf1ff
	s_delay_alu instid0(VALU_DEP_2)
	v_cndmask_b32_e64 v17, v20, v17, s1
	s_or_b32 vcc_lo, s0, vcc_lo
	v_or_b32_e32 v20, 0x1000, v8
	s_wait_alu 0xfffe
	v_add_co_ci_u32_e32 v19, vcc_lo, 0, v19, vcc_lo
	v_cmp_ne_u32_e32 vcc_lo, 0, v2
	v_and_or_b32 v25, 0x8000, v18, v17
	v_cvt_f64_f32_e32 v[17:18], v4
	v_and_or_b32 v13, 0x1ff, v14, v13
	v_lshrrev_b32_e32 v22, v21, v20
	s_wait_alu 0xfffd
	v_cndmask_b32_e64 v2, 0, 1, vcc_lo
	v_cmp_gt_i32_e32 vcc_lo, 31, v24
	v_mul_f64_e32 v[15:16], s[8:9], v[15:16]
	v_lshlrev_b32_e32 v21, v21, v22
	s_delay_alu instid0(VALU_DEP_4)
	v_lshl_or_b32 v2, v2, 9, 0x7c00
	s_wait_alu 0xfffd
	v_cndmask_b32_e32 v19, 0x7c00, v19, vcc_lo
	v_cmp_eq_u32_e32 vcc_lo, 0x40f, v24
	v_bfe_u32 v24, v14, 20, 11
	s_wait_alu 0xfffd
	s_delay_alu instid0(VALU_DEP_3) | instskip(SKIP_2) | instid1(VALU_DEP_3)
	v_cndmask_b32_e32 v2, v19, v2, vcc_lo
	v_cmp_ne_u32_e32 vcc_lo, 0, v13
	v_lshrrev_b32_e32 v13, 8, v14
	v_and_or_b32 v2, 0x8000, v10, v2
	s_wait_alu 0xfffd
	v_cndmask_b32_e64 v4, 0, 1, vcc_lo
	v_cmp_ne_u32_e32 vcc_lo, v21, v20
	v_add_nc_u32_e32 v21, 0xfffffc10, v27
	v_and_b32_e32 v10, 0xffff, v25
	s_delay_alu instid0(VALU_DEP_4)
	v_and_or_b32 v4, 0xffe, v13, v4
	v_sub_nc_u32_e32 v13, 0x3f1, v24
	s_wait_alu 0xfffd
	v_cndmask_b32_e64 v19, 0, 1, vcc_lo
	v_lshl_or_b32 v26, v21, 12, v8
	v_lshl_or_b32 v2, v2, 16, v10
	v_or_b32_e32 v27, 0x1000, v4
	v_med3_i32 v13, v13, 0, 13
	v_or_b32_e32 v22, v22, v19
	v_add_co_u32 v19, vcc_lo, v11, s6
	s_wait_alu 0xfffd
	v_add_co_ci_u32_e32 v20, vcc_lo, s7, v12, vcc_lo
	v_lshrrev_b32_e32 v25, v13, v27
	v_cmp_gt_i32_e32 vcc_lo, 1, v21
	global_store_b32 v[19:20], v23, off
	v_lshlrev_b32_e32 v10, v13, v25
	s_wait_alu 0xfffd
	v_cndmask_b32_e32 v22, v26, v22, vcc_lo
	v_lshrrev_b32_e32 v26, 16, v7
	v_and_or_b32 v15, 0x1ff, v16, v15
	v_lshrrev_b32_e32 v23, 8, v16
	v_cmp_ne_u32_e64 s1, v10, v27
	v_mul_f64_e32 v[10:11], s[8:9], v[17:18]
	v_and_b32_e32 v0, 7, v22
	v_mul_f16_e32 v12, v67, v26
	s_wait_alu 0xf1ff
	v_cndmask_b32_e64 v13, 0, 1, s1
	v_cmp_ne_u32_e64 s1, 0, v15
	v_cmp_lt_i32_e32 vcc_lo, 5, v0
	v_cmp_eq_u32_e64 s0, 3, v0
	v_lshrrev_b32_e32 v0, 2, v22
	v_fmac_f16_e32 v12, v66, v7
	v_add_nc_u32_e32 v22, 0xfffffc10, v24
	v_or_b32_e32 v17, v25, v13
	s_wait_alu 0xf1ff
	v_cndmask_b32_e64 v15, 0, 1, s1
	v_bfe_u32 v24, v16, 20, 11
	v_cvt_f32_f16_e32 v12, v12
	v_lshl_or_b32 v18, v22, 12, v4
	v_cmp_gt_i32_e64 s1, 1, v22
	s_or_b32 vcc_lo, s0, vcc_lo
	v_and_or_b32 v15, 0xffe, v23, v15
	s_wait_alu 0xfffe
	v_add_co_ci_u32_e32 v0, vcc_lo, 0, v0, vcc_lo
	v_cvt_f64_f32_e32 v[12:13], v12
	v_cndmask_b32_e64 v25, v18, v17, s1
	v_sub_nc_u32_e32 v17, 0x3f1, v24
	v_cmp_ne_u32_e32 vcc_lo, 0, v8
	v_mul_f16_e32 v7, v67, v7
	v_or_b32_e32 v27, 0x1000, v15
	v_cmp_eq_u32_e64 s1, 0x40f, v21
	v_med3_i32 v28, v17, 0, 13
	s_wait_alu 0xfffd
	v_cndmask_b32_e64 v8, 0, 1, vcc_lo
	v_add_co_u32 v17, vcc_lo, v19, s6
	s_wait_alu 0xfffd
	v_add_co_ci_u32_e32 v18, vcc_lo, s7, v20, vcc_lo
	v_cmp_gt_i32_e32 vcc_lo, 31, v21
	v_and_b32_e32 v23, 7, v25
	v_lshl_or_b32 v8, v8, 9, 0x7c00
	v_fma_f16 v7, v66, v26, -v7
	v_lshrrev_b32_e32 v19, 2, v25
	s_wait_alu 0xfffd
	v_cndmask_b32_e32 v0, 0x7c00, v0, vcc_lo
	v_cmp_lt_i32_e32 vcc_lo, 5, v23
	v_cmp_eq_u32_e64 s0, 3, v23
	v_lshrrev_b32_e32 v29, v28, v27
	v_cvt_f32_f16_e32 v7, v7
	s_wait_alu 0xf1ff
	v_cndmask_b32_e64 v0, v0, v8, s1
	v_and_or_b32 v8, 0x1ff, v11, v10
	s_or_b32 vcc_lo, s0, vcc_lo
	v_bfe_u32 v21, v11, 20, 11
	s_wait_alu 0xfffe
	v_add_co_ci_u32_e32 v10, vcc_lo, 0, v19, vcc_lo
	v_lshlrev_b32_e32 v23, v28, v29
	v_cmp_ne_u32_e32 vcc_lo, 0, v8
	v_cvt_f64_f32_e32 v[19:20], v7
	v_lshrrev_b32_e32 v8, 8, v11
	v_add_nc_u32_e32 v24, 0xfffffc10, v24
	global_store_b32 v[17:18], v2, off
	s_wait_alu 0xfffd
	v_cndmask_b32_e64 v7, 0, 1, vcc_lo
	v_cmp_ne_u32_e32 vcc_lo, v23, v27
	v_and_or_b32 v0, 0x8000, v9, v0
	v_mul_f64_e32 v[12:13], s[8:9], v[12:13]
	v_lshl_or_b32 v26, v24, 12, v15
	v_and_or_b32 v25, 0xffe, v8, v7
	s_wait_alu 0xfffd
	v_cndmask_b32_e64 v23, 0, 1, vcc_lo
	v_sub_nc_u32_e32 v7, 0x3f1, v21
	v_cmp_ne_u32_e32 vcc_lo, 0, v4
	v_add_nc_u32_e32 v21, 0xfffffc10, v21
	v_or_b32_e32 v27, 0x1000, v25
	v_or_b32_e32 v23, v29, v23
	v_med3_i32 v28, v7, 0, 13
	s_wait_alu 0xfffd
	v_cndmask_b32_e64 v4, 0, 1, vcc_lo
	v_cmp_gt_i32_e32 vcc_lo, 1, v24
	ds_load_2addr_stride64_b32 v[7:8], v52 offset0:24 offset1:26
	v_lshrrev_b32_e32 v16, 16, v16
	v_lshrrev_b32_e32 v11, 16, v11
	v_lshl_or_b32 v4, v4, 9, 0x7c00
	s_wait_alu 0xfffd
	v_cndmask_b32_e32 v23, v26, v23, vcc_lo
	v_lshrrev_b32_e32 v26, v28, v27
	v_cmp_gt_i32_e32 vcc_lo, 31, v22
	v_and_b32_e32 v0, 0xffff, v0
	s_delay_alu instid0(VALU_DEP_3) | instskip(SKIP_3) | instid1(VALU_DEP_3)
	v_lshlrev_b32_e32 v2, v28, v26
	s_wait_alu 0xfffd
	v_cndmask_b32_e32 v10, 0x7c00, v10, vcc_lo
	v_cmp_eq_u32_e32 vcc_lo, 0x40f, v22
	v_cmp_ne_u32_e64 s1, v2, v27
	s_wait_alu 0xfffd
	s_delay_alu instid0(VALU_DEP_3)
	v_cndmask_b32_e32 v4, v10, v4, vcc_lo
	v_lshrrev_b32_e32 v10, 16, v14
	v_lshrrev_b32_e32 v14, 2, v23
	s_wait_alu 0xf1ff
	v_cndmask_b32_e64 v2, 0, 1, s1
	s_wait_dscnt 0x0
	v_lshrrev_b32_e32 v22, 16, v7
	v_cmp_eq_u32_e64 s1, 0x40f, v24
	v_and_or_b32 v4, 0x8000, v10, v4
	v_mul_f64_e32 v[9:10], s[8:9], v[19:20]
	v_or_b32_e32 v2, v26, v2
	v_lshl_or_b32 v20, v21, 12, v25
	v_and_b32_e32 v29, 7, v23
	v_and_or_b32 v12, 0x1ff, v13, v12
	v_mul_f16_e32 v19, v65, v22
	v_bfe_u32 v26, v13, 20, 11
	v_lshl_or_b32 v0, v4, 16, v0
	v_cmp_lt_i32_e32 vcc_lo, 5, v29
	v_cmp_eq_u32_e64 s0, 3, v29
	v_fmac_f16_e32 v19, v64, v7
	v_mul_f16_e32 v7, v65, v7
	s_delay_alu instid0(VALU_DEP_3) | instskip(NEXT) | instid1(VALU_DEP_2)
	s_or_b32 vcc_lo, s0, vcc_lo
	v_cvt_f32_f16_e32 v19, v19
	s_wait_alu 0xfffe
	v_add_co_ci_u32_e32 v23, vcc_lo, 0, v14, vcc_lo
	v_cmp_gt_i32_e32 vcc_lo, 1, v21
	v_lshrrev_b32_e32 v14, 8, v13
	v_fma_f16 v7, v64, v22, -v7
	v_lshrrev_b32_e32 v13, 16, v13
	s_wait_alu 0xfffd
	v_cndmask_b32_e32 v2, v20, v2, vcc_lo
	v_cmp_ne_u32_e32 vcc_lo, 0, v12
	v_cvt_f32_f16_e32 v7, v7
	s_delay_alu instid0(VALU_DEP_3)
	v_and_b32_e32 v27, 7, v2
	s_wait_alu 0xfffd
	v_cndmask_b32_e64 v12, 0, 1, vcc_lo
	v_cmp_ne_u32_e32 vcc_lo, 0, v15
	v_lshrrev_b32_e32 v2, 2, v2
	v_cmp_eq_u32_e64 s0, 3, v27
	s_delay_alu instid0(VALU_DEP_4)
	v_and_or_b32 v28, 0xffe, v14, v12
	s_wait_alu 0xfffd
	v_cndmask_b32_e64 v20, 0, 1, vcc_lo
	v_cmp_gt_i32_e32 vcc_lo, 31, v24
	v_cvt_f64_f32_e32 v[14:15], v19
	v_sub_nc_u32_e32 v12, 0x3f1, v26
	v_and_or_b32 v9, 0x1ff, v10, v9
	v_lshl_or_b32 v20, v20, 9, 0x7c00
	s_wait_alu 0xfffd
	v_cndmask_b32_e32 v19, 0x7c00, v23, vcc_lo
	v_cmp_lt_i32_e32 vcc_lo, 5, v27
	v_or_b32_e32 v23, 0x1000, v28
	v_med3_i32 v12, v12, 0, 13
	v_lshrrev_b32_e32 v22, 8, v10
	v_cndmask_b32_e64 v24, v19, v20, s1
	s_or_b32 vcc_lo, s0, vcc_lo
	v_bfe_u32 v29, v10, 20, 11
	s_wait_alu 0xfffe
	v_add_co_ci_u32_e32 v2, vcc_lo, 0, v2, vcc_lo
	v_cmp_ne_u32_e32 vcc_lo, 0, v25
	v_lshrrev_b32_e32 v27, v12, v23
	v_cvt_f64_f32_e32 v[19:20], v7
	s_wait_alu 0xfffd
	v_cndmask_b32_e64 v25, 0, 1, vcc_lo
	v_cmp_gt_i32_e32 vcc_lo, 31, v21
	v_lshlrev_b32_e32 v12, v12, v27
	s_wait_alu 0xfffd
	v_cndmask_b32_e32 v2, 0x7c00, v2, vcc_lo
	v_cmp_ne_u32_e32 vcc_lo, 0, v9
	s_wait_alu 0xfffd
	v_cndmask_b32_e64 v9, 0, 1, vcc_lo
	v_cmp_ne_u32_e32 vcc_lo, v12, v23
	v_add_nc_u32_e32 v23, 0xfffffc10, v26
	v_lshl_or_b32 v12, v25, 9, 0x7c00
	s_delay_alu instid0(VALU_DEP_4)
	v_and_or_b32 v9, 0xffe, v22, v9
	s_wait_alu 0xfffd
	v_cndmask_b32_e64 v7, 0, 1, vcc_lo
	v_sub_nc_u32_e32 v22, 0x3f1, v29
	v_lshl_or_b32 v25, v23, 12, v28
	v_cmp_gt_i32_e32 vcc_lo, 1, v23
	v_or_b32_e32 v26, 0x1000, v9
	v_or_b32_e32 v7, v27, v7
	v_med3_i32 v22, v22, 0, 13
	v_mul_f64_e32 v[14:15], s[8:9], v[14:15]
	s_wait_alu 0xfffd
	s_delay_alu instid0(VALU_DEP_3) | instskip(SKIP_2) | instid1(VALU_DEP_2)
	v_cndmask_b32_e32 v7, v25, v7, vcc_lo
	v_cmp_eq_u32_e32 vcc_lo, 0x40f, v21
	s_wait_alu 0xfffd
	v_dual_cndmask_b32 v2, v2, v12 :: v_dual_and_b32 v21, 7, v7
	v_and_or_b32 v12, 0x8000, v16, v24
	v_lshrrev_b32_e32 v16, v22, v26
	v_lshrrev_b32_e32 v7, 2, v7
	s_delay_alu instid0(VALU_DEP_4)
	v_cmp_lt_i32_e32 vcc_lo, 5, v21
	v_and_or_b32 v2, 0x8000, v11, v2
	v_add_co_u32 v11, s1, v17, s6
	v_lshlrev_b32_e32 v22, v22, v16
	v_and_b32_e32 v4, 0xffff, v12
	s_wait_alu 0xf1ff
	v_add_co_ci_u32_e64 v12, s1, s7, v18, s1
	v_cmp_eq_u32_e64 s0, 3, v21
	v_cmp_ne_u32_e64 s1, v22, v26
	v_add_nc_u32_e32 v21, 0xfffffc10, v29
	v_lshl_or_b32 v2, v2, 16, v4
	v_lshrrev_b32_e32 v22, 16, v6
	s_or_b32 vcc_lo, s0, vcc_lo
	v_cndmask_b32_e64 v17, 0, 1, s1
	s_wait_alu 0xfffe
	v_add_co_ci_u32_e32 v7, vcc_lo, 0, v7, vcc_lo
	v_lshl_or_b32 v18, v21, 12, v9
	v_cmp_gt_i32_e32 vcc_lo, 1, v21
	v_or_b32_e32 v4, v16, v17
	v_mul_f16_e32 v24, v63, v22
	v_mul_f64_e32 v[16:17], s[8:9], v[19:20]
	global_store_b32 v[11:12], v0, off
	v_lshrrev_b32_e32 v0, 16, v5
	s_wait_alu 0xfffd
	v_cndmask_b32_e32 v4, v18, v4, vcc_lo
	v_cmp_ne_u32_e32 vcc_lo, 0, v28
	v_fmac_f16_e32 v24, v62, v6
	v_and_or_b32 v14, 0x1ff, v15, v14
	v_bfe_u32 v25, v15, 20, 11
	v_and_b32_e32 v20, 7, v4
	s_wait_alu 0xfffd
	v_cndmask_b32_e64 v18, 0, 1, vcc_lo
	v_cmp_gt_i32_e32 vcc_lo, 31, v23
	v_lshrrev_b32_e32 v4, 2, v4
	v_cvt_f32_f16_e32 v19, v24
	v_cmp_eq_u32_e64 s0, 3, v20
	v_lshl_or_b32 v24, v18, 9, 0x7c00
	s_wait_alu 0xfffd
	v_cndmask_b32_e32 v7, 0x7c00, v7, vcc_lo
	v_cmp_lt_i32_e32 vcc_lo, 5, v20
	v_cvt_f64_f32_e32 v[18:19], v19
	v_cmp_ne_u32_e64 s1, 0, v14
	v_lshrrev_b32_e32 v20, 8, v15
	v_mul_f16_e32 v6, v63, v6
	s_or_b32 vcc_lo, s0, vcc_lo
	v_lshrrev_b32_e32 v15, 16, v15
	s_wait_alu 0xfffe
	v_add_co_ci_u32_e32 v4, vcc_lo, 0, v4, vcc_lo
	v_cmp_ne_u32_e32 vcc_lo, 0, v9
	v_cndmask_b32_e64 v14, 0, 1, s1
	v_fma_f16 v6, v62, v22, -v6
	s_wait_alu 0xfffd
	v_cndmask_b32_e64 v9, 0, 1, vcc_lo
	v_cmp_gt_i32_e32 vcc_lo, 31, v21
	v_and_or_b32 v20, 0xffe, v20, v14
	v_cvt_f32_f16_e32 v6, v6
	s_delay_alu instid0(VALU_DEP_4)
	v_lshl_or_b32 v9, v9, 9, 0x7c00
	s_wait_alu 0xfffd
	v_cndmask_b32_e32 v4, 0x7c00, v4, vcc_lo
	v_cmp_eq_u32_e32 vcc_lo, 0x40f, v21
	v_or_b32_e32 v14, 0x1000, v20
	v_and_or_b32 v16, 0x1ff, v17, v16
	v_bfe_u32 v21, v17, 20, 11
	s_wait_alu 0xfffd
	v_cndmask_b32_e32 v4, v4, v9, vcc_lo
	v_cmp_eq_u32_e64 s1, 0x40f, v23
	v_cmp_ne_u32_e32 vcc_lo, 0, v16
	v_lshrrev_b32_e32 v16, 8, v17
	s_wait_alu 0xf1ff
	s_delay_alu instid0(VALU_DEP_3) | instskip(SKIP_3) | instid1(VALU_DEP_3)
	v_cndmask_b32_e64 v23, v7, v24, s1
	v_sub_nc_u32_e32 v7, 0x3f1, v25
	s_wait_alu 0xfffd
	v_cndmask_b32_e64 v9, 0, 1, vcc_lo
	v_and_or_b32 v23, 0x8000, v13, v23
	s_delay_alu instid0(VALU_DEP_3) | instskip(SKIP_1) | instid1(VALU_DEP_4)
	v_med3_i32 v22, v7, 0, 13
	v_cvt_f64_f32_e32 v[6:7], v6
	v_and_or_b32 v16, 0xffe, v16, v9
	v_sub_nc_u32_e32 v9, 0x3f1, v21
	v_add_nc_u32_e32 v21, 0xfffffc10, v21
	v_lshrrev_b32_e32 v24, v22, v14
	s_delay_alu instid0(VALU_DEP_3) | instskip(NEXT) | instid1(VALU_DEP_3)
	v_med3_i32 v26, v9, 0, 13
	v_cmp_gt_i32_e64 s1, 1, v21
	s_delay_alu instid0(VALU_DEP_3) | instskip(NEXT) | instid1(VALU_DEP_1)
	v_lshlrev_b32_e32 v22, v22, v24
	v_cmp_ne_u32_e32 vcc_lo, v22, v14
	v_mul_f64_e32 v[13:14], s[8:9], v[18:19]
	v_add_nc_u32_e32 v18, 0xfffffc10, v25
	v_lshrrev_b32_e32 v19, 16, v10
	v_or_b32_e32 v25, 0x1000, v16
	s_wait_alu 0xfffd
	v_cndmask_b32_e64 v22, 0, 1, vcc_lo
	v_add_co_u32 v9, vcc_lo, v11, s2
	s_wait_alu 0xfffd
	v_add_co_ci_u32_e32 v10, vcc_lo, s3, v12, vcc_lo
	v_and_or_b32 v4, 0x8000, v19, v4
	v_and_b32_e32 v19, 0xffff, v23
	v_lshrrev_b32_e32 v23, v26, v25
	v_or_b32_e32 v22, v24, v22
	v_lshl_or_b32 v24, v18, 12, v20
	v_cmp_gt_i32_e32 vcc_lo, 1, v18
	global_store_b32 v[9:10], v2, off
	v_lshlrev_b32_e32 v2, v26, v23
	v_lshl_or_b32 v12, v21, 12, v16
	v_mul_f16_e32 v11, v61, v0
	s_wait_alu 0xfffd
	v_cndmask_b32_e32 v22, v24, v22, vcc_lo
	v_lshl_or_b32 v24, v4, 16, v19
	v_cmp_ne_u32_e32 vcc_lo, v2, v25
	v_mul_f64_e32 v[6:7], s[8:9], v[6:7]
	s_delay_alu instid0(VALU_DEP_4)
	v_and_b32_e32 v4, 7, v22
	v_fmac_f16_e32 v11, v60, v5
	s_wait_alu 0xfffd
	v_cndmask_b32_e64 v2, 0, 1, vcc_lo
	v_add_co_u32 v9, vcc_lo, v9, s6
	s_wait_alu 0xfffd
	v_add_co_ci_u32_e32 v10, vcc_lo, s7, v10, vcc_lo
	v_cmp_lt_i32_e32 vcc_lo, 5, v4
	v_cmp_eq_u32_e64 s0, 3, v4
	v_lshrrev_b32_e32 v4, 2, v22
	v_or_b32_e32 v2, v23, v2
	v_cvt_f32_f16_e32 v11, v11
	v_mul_f16_e32 v5, v61, v5
	s_or_b32 vcc_lo, s0, vcc_lo
	v_and_or_b32 v13, 0x1ff, v14, v13
	s_wait_alu 0xfffe
	v_add_co_ci_u32_e32 v4, vcc_lo, 0, v4, vcc_lo
	v_cndmask_b32_e64 v2, v12, v2, s1
	v_lshrrev_b32_e32 v22, 8, v14
	v_cmp_ne_u32_e32 vcc_lo, 0, v13
	v_bfe_u32 v23, v14, 20, 11
	v_cvt_f64_f32_e32 v[11:12], v11
	v_and_b32_e32 v19, 7, v2
	v_lshrrev_b32_e32 v2, 2, v2
	s_wait_alu 0xfffd
	v_cndmask_b32_e64 v13, 0, 1, vcc_lo
	v_cmp_gt_i32_e32 vcc_lo, 31, v18
	v_fma_f16 v0, v60, v0, -v5
	v_cmp_eq_u32_e64 s0, 3, v19
	global_store_b32 v[9:10], v24, off
	v_and_or_b32 v13, 0xffe, v22, v13
	s_wait_alu 0xfffd
	v_cndmask_b32_e32 v4, 0x7c00, v4, vcc_lo
	v_cmp_ne_u32_e32 vcc_lo, 0, v20
	v_sub_nc_u32_e32 v22, 0x3f1, v23
	v_cvt_f32_f16_e32 v0, v0
	s_wait_alu 0xfffd
	v_cndmask_b32_e64 v20, 0, 1, vcc_lo
	v_cmp_lt_i32_e32 vcc_lo, 5, v19
	v_med3_i32 v22, v22, 0, 13
	v_and_or_b32 v6, 0x1ff, v7, v6
	v_bfe_u32 v26, v7, 20, 11
	v_lshl_or_b32 v19, v20, 9, 0x7c00
	s_or_b32 vcc_lo, s0, vcc_lo
	v_or_b32_e32 v20, 0x1000, v13
	s_wait_alu 0xfffe
	v_add_co_ci_u32_e32 v2, vcc_lo, 0, v2, vcc_lo
	v_cmp_eq_u32_e32 vcc_lo, 0x40f, v18
	s_delay_alu instid0(VALU_DEP_3)
	v_lshrrev_b32_e32 v5, v22, v20
	s_wait_alu 0xfffd
	v_cndmask_b32_e32 v25, v4, v19, vcc_lo
	v_cmp_ne_u32_e32 vcc_lo, 0, v6
	v_cvt_f64_f32_e32 v[18:19], v0
	v_lshrrev_b32_e32 v6, 8, v7
	v_lshlrev_b32_e32 v0, v22, v5
	v_and_or_b32 v15, 0x8000, v15, v25
	s_wait_alu 0xfffd
	v_cndmask_b32_e64 v4, 0, 1, vcc_lo
	v_cmp_ne_u32_e32 vcc_lo, 0, v16
	v_mul_f64_e32 v[11:12], s[8:9], v[11:12]
	v_lshrrev_b32_e32 v7, 16, v7
	s_delay_alu instid0(VALU_DEP_4)
	v_and_or_b32 v6, 0xffe, v6, v4
	v_sub_nc_u32_e32 v4, 0x3f1, v26
	s_wait_alu 0xfffd
	v_cndmask_b32_e64 v16, 0, 1, vcc_lo
	v_cmp_ne_u32_e32 vcc_lo, v0, v20
	v_add_nc_u32_e32 v20, 0xfffffc10, v23
	v_or_b32_e32 v22, 0x1000, v6
	v_med3_i32 v23, v4, 0, 13
	v_lshl_or_b32 v16, v16, 9, 0x7c00
	s_wait_alu 0xfffd
	v_cndmask_b32_e64 v0, 0, 1, vcc_lo
	v_cmp_gt_i32_e32 vcc_lo, 31, v21
	v_lshl_or_b32 v27, v20, 12, v13
	v_lshrrev_b32_e32 v28, v23, v22
	v_cmp_eq_u32_e64 s1, 0x40f, v20
	v_or_b32_e32 v0, v5, v0
	s_wait_alu 0xfffd
	v_cndmask_b32_e32 v2, 0x7c00, v2, vcc_lo
	v_cmp_eq_u32_e32 vcc_lo, 0x40f, v21
	ds_load_2addr_stride64_b32 v[4:5], v52 offset0:16 offset1:18
	s_wait_alu 0xfffd
	v_cndmask_b32_e32 v2, v2, v16, vcc_lo
	v_cmp_gt_i32_e32 vcc_lo, 1, v20
	v_lshrrev_b32_e32 v16, 16, v17
	v_lshlrev_b32_e32 v17, v23, v28
	s_wait_alu 0xfffd
	v_dual_cndmask_b32 v0, v27, v0 :: v_dual_and_b32 v23, 0xffff, v15
	s_delay_alu instid0(VALU_DEP_3) | instskip(NEXT) | instid1(VALU_DEP_3)
	v_and_or_b32 v2, 0x8000, v16, v2
	v_cmp_ne_u32_e32 vcc_lo, v17, v22
	v_add_nc_u32_e32 v22, 0xfffffc10, v26
	s_wait_alu 0xfffd
	v_cndmask_b32_e64 v15, 0, 1, vcc_lo
	v_and_or_b32 v11, 0x1ff, v12, v11
	v_bfe_u32 v26, v12, 20, 11
	s_delay_alu instid0(VALU_DEP_3)
	v_or_b32_e32 v17, v28, v15
	v_mul_f64_e32 v[15:16], s[8:9], v[18:19]
	v_lshl_or_b32 v18, v22, 12, v6
	v_and_b32_e32 v21, 7, v0
	v_lshrrev_b32_e32 v0, 2, v0
	s_wait_dscnt 0x0
	v_lshrrev_b32_e32 v19, 16, v4
	s_delay_alu instid0(VALU_DEP_3) | instskip(SKIP_1) | instid1(VALU_DEP_3)
	v_cmp_lt_i32_e32 vcc_lo, 5, v21
	v_cmp_eq_u32_e64 s0, 3, v21
	v_mul_f16_e32 v21, v59, v19
	s_delay_alu instid0(VALU_DEP_2) | instskip(NEXT) | instid1(VALU_DEP_1)
	s_or_b32 vcc_lo, s0, vcc_lo
	v_fmac_f16_e32 v21, v58, v4
	s_wait_alu 0xfffe
	v_add_co_ci_u32_e32 v0, vcc_lo, 0, v0, vcc_lo
	v_cmp_ne_u32_e32 vcc_lo, 0, v13
	v_mul_f16_e32 v4, v59, v4
	s_wait_alu 0xfffd
	v_cndmask_b32_e64 v13, 0, 1, vcc_lo
	v_cmp_gt_i32_e32 vcc_lo, 1, v22
	s_delay_alu instid0(VALU_DEP_3) | instskip(NEXT) | instid1(VALU_DEP_3)
	v_fma_f16 v4, v58, v19, -v4
	v_lshl_or_b32 v13, v13, 9, 0x7c00
	s_wait_alu 0xfffd
	v_cndmask_b32_e32 v24, v18, v17, vcc_lo
	v_cvt_f32_f16_e32 v17, v21
	v_cmp_gt_i32_e32 vcc_lo, 31, v20
	v_lshrrev_b32_e32 v21, 8, v12
	v_cvt_f32_f16_e32 v4, v4
	v_and_b32_e32 v25, 7, v24
	v_cvt_f64_f32_e32 v[17:18], v17
	s_wait_alu 0xfffd
	v_cndmask_b32_e32 v0, 0x7c00, v0, vcc_lo
	v_cmp_ne_u32_e32 vcc_lo, 0, v11
	v_cmp_eq_u32_e64 s0, 3, v25
	v_and_or_b32 v15, 0x1ff, v16, v15
	s_delay_alu instid0(VALU_DEP_4)
	v_cndmask_b32_e64 v0, v0, v13, s1
	s_wait_alu 0xfffd
	v_cndmask_b32_e64 v11, 0, 1, vcc_lo
	v_cmp_lt_i32_e32 vcc_lo, 5, v25
	v_lshrrev_b32_e32 v13, 2, v24
	v_lshrrev_b32_e32 v27, 8, v16
	v_bfe_u32 v28, v16, 20, 11
	v_and_or_b32 v11, 0xffe, v21, v11
	s_or_b32 vcc_lo, s0, vcc_lo
	v_sub_nc_u32_e32 v21, 0x3f1, v26
	s_wait_alu 0xfffe
	v_add_co_ci_u32_e32 v13, vcc_lo, 0, v13, vcc_lo
	v_cmp_ne_u32_e32 vcc_lo, 0, v6
	v_or_b32_e32 v20, 0x1000, v11
	v_med3_i32 v21, v21, 0, 13
	v_lshrrev_b32_e32 v24, 16, v14
	s_wait_alu 0xfffd
	v_cndmask_b32_e64 v6, 0, 1, vcc_lo
	v_cmp_gt_i32_e32 vcc_lo, 31, v22
	v_lshrrev_b32_e32 v25, v21, v20
	v_and_or_b32 v0, 0x8000, v24, v0
	s_delay_alu instid0(VALU_DEP_4)
	v_lshl_or_b32 v6, v6, 9, 0x7c00
	s_wait_alu 0xfffd
	v_cndmask_b32_e32 v19, 0x7c00, v13, vcc_lo
	v_cmp_ne_u32_e32 vcc_lo, 0, v15
	v_lshlrev_b32_e32 v21, v21, v25
	v_cvt_f64_f32_e32 v[13:14], v4
	v_and_b32_e32 v0, 0xffff, v0
	s_wait_alu 0xfffd
	v_cndmask_b32_e64 v15, 0, 1, vcc_lo
	v_cmp_eq_u32_e32 vcc_lo, 0x40f, v22
	v_mul_f64_e32 v[17:18], s[8:9], v[17:18]
	s_delay_alu instid0(VALU_DEP_3)
	v_and_or_b32 v15, 0xffe, v27, v15
	s_wait_alu 0xfffd
	v_cndmask_b32_e32 v4, v19, v6, vcc_lo
	v_sub_nc_u32_e32 v6, 0x3f1, v28
	v_cmp_ne_u32_e32 vcc_lo, v21, v20
	v_add_nc_u32_e32 v20, 0xfffffc10, v26
	v_or_b32_e32 v21, 0x1000, v15
	v_and_or_b32 v4, 0x8000, v7, v4
	v_med3_i32 v6, v6, 0, 13
	s_wait_alu 0xfffd
	v_cndmask_b32_e64 v19, 0, 1, vcc_lo
	v_lshl_or_b32 v22, v20, 12, v11
	v_cmp_gt_i32_e32 vcc_lo, 1, v20
	v_lshl_or_b32 v0, v4, 16, v0
	v_lshrrev_b32_e32 v24, v6, v21
	v_or_b32_e32 v19, v25, v19
	v_lshl_or_b32 v2, v2, 16, v23
	s_delay_alu instid0(VALU_DEP_3) | instskip(SKIP_1) | instid1(VALU_DEP_3)
	v_lshlrev_b32_e32 v6, v6, v24
	s_wait_alu 0xfffd
	v_cndmask_b32_e32 v19, v22, v19, vcc_lo
	v_lshrrev_b32_e32 v22, 16, v8
	v_add_co_u32 v9, vcc_lo, v9, s6
	s_wait_alu 0xfffd
	v_add_co_ci_u32_e32 v10, vcc_lo, s7, v10, vcc_lo
	v_and_b32_e32 v7, 7, v19
	v_mul_f16_e32 v4, v57, v22
	v_cmp_ne_u32_e32 vcc_lo, v6, v21
	v_add_nc_u32_e32 v21, 0xfffffc10, v28
	v_lshrrev_b32_e32 v19, 2, v19
	v_cmp_eq_u32_e64 s0, 3, v7
	v_fmac_f16_e32 v4, v56, v8
	s_wait_alu 0xfffd
	v_cndmask_b32_e64 v6, 0, 1, vcc_lo
	v_cmp_lt_i32_e32 vcc_lo, 5, v7
	v_lshl_or_b32 v7, v21, 12, v15
	v_cmp_gt_i32_e64 s1, 1, v21
	v_cvt_f32_f16_e32 v4, v4
	v_or_b32_e32 v6, v24, v6
	s_or_b32 vcc_lo, s0, vcc_lo
	v_mul_f64_e32 v[13:14], s[8:9], v[13:14]
	s_wait_alu 0xfffe
	v_add_co_ci_u32_e32 v19, vcc_lo, 0, v19, vcc_lo
	v_cndmask_b32_e64 v23, v7, v6, s1
	v_cvt_f64_f32_e32 v[6:7], v4
	v_cmp_ne_u32_e32 vcc_lo, 0, v11
	v_and_or_b32 v17, 0x1ff, v18, v17
	v_cmp_eq_u32_e64 s1, 0x40f, v20
	v_and_b32_e32 v4, 7, v23
	v_lshrrev_b32_e32 v24, 8, v18
	s_wait_alu 0xfffd
	v_cndmask_b32_e64 v11, 0, 1, vcc_lo
	v_cmp_gt_i32_e32 vcc_lo, 31, v20
	v_cmp_ne_u32_e64 s0, 0, v17
	v_bfe_u32 v25, v18, 20, 11
	v_mul_f16_e32 v8, v57, v8
	v_lshl_or_b32 v11, v11, 9, 0x7c00
	s_wait_alu 0xfffd
	v_cndmask_b32_e32 v19, 0x7c00, v19, vcc_lo
	v_cmp_lt_i32_e32 vcc_lo, 5, v4
	s_wait_alu 0xf1ff
	v_cndmask_b32_e64 v17, 0, 1, s0
	v_cmp_eq_u32_e64 s0, 3, v4
	v_fma_f16 v8, v56, v22, -v8
	v_cndmask_b32_e64 v4, v19, v11, s1
	v_lshrrev_b32_e32 v11, 2, v23
	v_and_or_b32 v17, 0xffe, v24, v17
	s_or_b32 vcc_lo, s0, vcc_lo
	v_sub_nc_u32_e32 v19, 0x3f1, v25
	v_lshrrev_b32_e32 v20, 16, v12
	s_wait_alu 0xfffe
	v_add_co_ci_u32_e32 v11, vcc_lo, 0, v11, vcc_lo
	v_cmp_ne_u32_e32 vcc_lo, 0, v15
	v_or_b32_e32 v23, 0x1000, v17
	v_med3_i32 v19, v19, 0, 13
	v_cvt_f32_f16_e32 v8, v8
	v_and_or_b32 v4, 0x8000, v20, v4
	s_wait_alu 0xfffd
	v_cndmask_b32_e64 v12, 0, 1, vcc_lo
	v_cmp_gt_i32_e32 vcc_lo, 31, v21
	v_lshrrev_b32_e32 v15, v19, v23
	v_lshrrev_b32_e32 v18, 16, v18
	v_and_or_b32 v13, 0x1ff, v14, v13
	v_lshl_or_b32 v24, v12, 9, 0x7c00
	s_wait_alu 0xfffd
	v_cndmask_b32_e32 v22, 0x7c00, v11, vcc_lo
	v_cvt_f64_f32_e32 v[11:12], v8
	v_lshlrev_b32_e32 v26, v19, v15
	v_mul_f64_e32 v[19:20], s[8:9], v[6:7]
	v_cmp_eq_u32_e32 vcc_lo, 0x40f, v21
	v_lshrrev_b32_e32 v21, 8, v14
	ds_load_2addr_stride64_b32 v[6:7], v52 offset0:36 offset1:38
	v_and_b32_e32 v4, 0xffff, v4
	s_wait_alu 0xfffd
	v_cndmask_b32_e32 v8, v22, v24, vcc_lo
	v_cmp_ne_u32_e32 vcc_lo, 0, v13
	v_bfe_u32 v22, v14, 20, 11
	v_add_nc_u32_e32 v24, 0xfffffc10, v25
	v_lshrrev_b32_e32 v25, 16, v16
	v_lshrrev_b32_e32 v14, 16, v14
	s_wait_alu 0xfffd
	v_cndmask_b32_e64 v13, 0, 1, vcc_lo
	v_cmp_ne_u32_e32 vcc_lo, v26, v23
	v_lshl_or_b32 v26, v24, 12, v17
	v_and_or_b32 v8, 0x8000, v25, v8
	s_delay_alu instid0(VALU_DEP_4)
	v_and_or_b32 v21, 0xffe, v21, v13
	v_sub_nc_u32_e32 v13, 0x3f1, v22
	s_wait_alu 0xfffd
	v_cndmask_b32_e64 v23, 0, 1, vcc_lo
	v_add_nc_u32_e32 v22, 0xfffffc10, v22
	v_or_b32_e32 v27, 0x1000, v21
	v_med3_i32 v13, v13, 0, 13
	s_delay_alu instid0(VALU_DEP_4)
	v_or_b32_e32 v23, v15, v23
	v_add_co_u32 v15, vcc_lo, v9, s6
	s_wait_alu 0xfffd
	v_add_co_ci_u32_e32 v16, vcc_lo, s7, v10, vcc_lo
	v_lshrrev_b32_e32 v25, v13, v27
	v_cmp_gt_i32_e32 vcc_lo, 1, v24
	global_store_b32 v[9:10], v2, off
	global_store_b32 v[15:16], v0, off
	v_lshl_or_b32 v0, v8, 16, v4
	s_wait_alu 0xfffd
	v_dual_cndmask_b32 v23, v26, v23 :: v_dual_lshlrev_b32 v2, v13, v25
	s_wait_dscnt 0x0
	v_lshrrev_b32_e32 v26, 16, v6
	v_mul_f64_e32 v[10:11], s[8:9], v[11:12]
	v_and_or_b32 v12, 0x1ff, v20, v19
	v_cmp_ne_u32_e64 s0, v2, v27
	v_and_b32_e32 v4, 7, v23
	v_mul_f16_e32 v13, v55, v26
	v_add_co_u32 v8, vcc_lo, v15, s2
	s_wait_alu 0xf1ff
	v_cndmask_b32_e64 v2, 0, 1, s0
	v_cmp_ne_u32_e64 s1, 0, v12
	v_fmac_f16_e32 v13, v54, v6
	s_wait_alu 0xfffd
	v_add_co_ci_u32_e32 v9, vcc_lo, s3, v16, vcc_lo
	v_cmp_lt_i32_e32 vcc_lo, 5, v4
	v_cmp_eq_u32_e64 s0, 3, v4
	v_lshrrev_b32_e32 v4, 2, v23
	v_or_b32_e32 v2, v25, v2
	v_cvt_f32_f16_e32 v13, v13
	v_lshl_or_b32 v15, v22, 12, v21
	s_wait_alu 0xf1ff
	v_cndmask_b32_e64 v16, 0, 1, s1
	v_cmp_gt_i32_e64 s1, 1, v22
	s_or_b32 vcc_lo, s0, vcc_lo
	v_lshrrev_b32_e32 v19, 8, v20
	s_wait_alu 0xfffe
	v_add_co_ci_u32_e32 v4, vcc_lo, 0, v4, vcc_lo
	v_cvt_f64_f32_e32 v[12:13], v13
	v_cndmask_b32_e64 v2, v15, v2, s1
	v_cmp_ne_u32_e32 vcc_lo, 0, v17
	v_bfe_u32 v23, v20, 20, 11
	v_and_or_b32 v19, 0xffe, v19, v16
	v_mul_f16_e32 v6, v55, v6
	v_and_b32_e32 v16, 7, v2
	s_wait_alu 0xfffd
	v_cndmask_b32_e64 v17, 0, 1, vcc_lo
	v_cmp_gt_i32_e32 vcc_lo, 31, v24
	v_sub_nc_u32_e32 v15, 0x3f1, v23
	v_add_nc_u32_e32 v23, 0xfffffc10, v23
	v_cmp_eq_u32_e64 s0, 3, v16
	v_lshrrev_b32_e32 v2, 2, v2
	s_wait_alu 0xfffd
	v_cndmask_b32_e32 v4, 0x7c00, v4, vcc_lo
	v_cmp_lt_i32_e32 vcc_lo, 5, v16
	v_or_b32_e32 v25, 0x1000, v19
	v_med3_i32 v15, v15, 0, 13
	v_fma_f16 v6, v54, v26, -v6
	v_and_or_b32 v10, 0x1ff, v11, v10
	s_or_b32 vcc_lo, s0, vcc_lo
	v_bfe_u32 v28, v11, 20, 11
	s_wait_alu 0xfffe
	v_add_co_ci_u32_e32 v2, vcc_lo, 0, v2, vcc_lo
	v_lshrrev_b32_e32 v27, v15, v25
	v_cmp_gt_i32_e32 vcc_lo, 31, v22
	v_cvt_f32_f16_e32 v6, v6
	v_lshl_or_b32 v17, v17, 9, 0x7c00
	global_store_b32 v[8:9], v0, off
	v_lshlrev_b32_e32 v26, v15, v27
	s_wait_alu 0xfffd
	v_cndmask_b32_e32 v2, 0x7c00, v2, vcc_lo
	v_cmp_ne_u32_e32 vcc_lo, 0, v10
	v_cvt_f64_f32_e32 v[15:16], v6
	v_lshrrev_b32_e32 v10, 8, v11
	v_lshrrev_b32_e32 v20, 16, v20
	;; [unrolled: 1-line block ×3, first 2 shown]
	s_wait_alu 0xfffd
	v_cndmask_b32_e64 v6, 0, 1, vcc_lo
	v_cmp_ne_u32_e32 vcc_lo, v26, v25
	v_mul_f64_e32 v[12:13], s[8:9], v[12:13]
	s_delay_alu instid0(VALU_DEP_3)
	v_and_or_b32 v6, 0xffe, v10, v6
	s_wait_alu 0xfffd
	v_cndmask_b32_e64 v25, 0, 1, vcc_lo
	v_cmp_ne_u32_e32 vcc_lo, 0, v21
	v_sub_nc_u32_e32 v10, 0x3f1, v28
	v_or_b32_e32 v26, 0x1000, v6
	s_delay_alu instid0(VALU_DEP_4)
	v_or_b32_e32 v25, v27, v25
	s_wait_alu 0xfffd
	v_cndmask_b32_e64 v21, 0, 1, vcc_lo
	v_cmp_eq_u32_e32 vcc_lo, 0x40f, v24
	v_lshl_or_b32 v27, v23, 12, v19
	v_med3_i32 v10, v10, 0, 13
	s_delay_alu instid0(VALU_DEP_4) | instskip(SKIP_4) | instid1(VALU_DEP_3)
	v_lshl_or_b32 v21, v21, 9, 0x7c00
	s_wait_alu 0xfffd
	v_cndmask_b32_e32 v4, v4, v17, vcc_lo
	v_cmp_gt_i32_e32 vcc_lo, 1, v23
	v_lshrrev_b32_e32 v17, v10, v26
	v_and_or_b32 v4, 0x8000, v18, v4
	s_wait_alu 0xfffd
	v_cndmask_b32_e32 v24, v27, v25, vcc_lo
	v_cmp_eq_u32_e32 vcc_lo, 0x40f, v22
	v_lshlrev_b32_e32 v10, v10, v17
	v_add_nc_u32_e32 v18, 0xfffffc10, v28
	v_and_b32_e32 v4, 0xffff, v4
	s_wait_alu 0xfffd
	v_dual_cndmask_b32 v2, v2, v21 :: v_dual_and_b32 v21, 7, v24
	v_cmp_ne_u32_e64 s1, v10, v26
	s_delay_alu instid0(VALU_DEP_2) | instskip(NEXT) | instid1(VALU_DEP_3)
	v_and_or_b32 v0, 0x8000, v14, v2
	v_cmp_lt_i32_e32 vcc_lo, 5, v21
	v_cmp_eq_u32_e64 s0, 3, v21
	v_lshrrev_b32_e32 v2, 2, v24
	s_wait_alu 0xf1ff
	v_cndmask_b32_e64 v10, 0, 1, s1
	v_mul_f64_e32 v[14:15], s[8:9], v[15:16]
	v_lshrrev_b32_e32 v21, 16, v3
	s_or_b32 vcc_lo, s0, vcc_lo
	v_lshl_or_b32 v16, v18, 12, v6
	s_wait_alu 0xfffe
	v_add_co_ci_u32_e32 v2, vcc_lo, 0, v2, vcc_lo
	v_cmp_ne_u32_e32 vcc_lo, 0, v19
	v_or_b32_e32 v10, v17, v10
	v_and_or_b32 v12, 0x1ff, v13, v12
	v_mul_f16_e32 v19, v53, v21
	v_cmp_eq_u32_e64 s1, 0x40f, v23
	s_wait_alu 0xfffd
	v_cndmask_b32_e64 v17, 0, 1, vcc_lo
	v_cmp_gt_i32_e32 vcc_lo, 1, v18
	v_bfe_u32 v24, v13, 20, 11
	v_fmac_f16_e32 v19, v51, v3
	v_mul_f16_e32 v3, v53, v3
	v_lshl_or_b32 v22, v17, 9, 0x7c00
	s_wait_alu 0xfffd
	v_cndmask_b32_e32 v10, v16, v10, vcc_lo
	v_cmp_gt_i32_e32 vcc_lo, 31, v23
	v_lshrrev_b32_e32 v17, 8, v13
	v_cvt_f32_f16_e32 v19, v19
	v_fma_f16 v3, v51, v21, -v3
	v_and_b32_e32 v16, 7, v10
	s_wait_alu 0xfffd
	v_cndmask_b32_e32 v2, 0x7c00, v2, vcc_lo
	v_cmp_ne_u32_e32 vcc_lo, 0, v12
	v_lshl_or_b32 v0, v0, 16, v4
	v_cmp_eq_u32_e64 s0, 3, v16
	s_wait_alu 0xf1ff
	v_cndmask_b32_e64 v22, v2, v22, s1
	s_wait_alu 0xfffd
	v_cndmask_b32_e64 v12, 0, 1, vcc_lo
	v_cmp_lt_i32_e32 vcc_lo, 5, v16
	v_lshrrev_b32_e32 v2, 2, v10
	v_and_or_b32 v20, 0x8000, v20, v22
	s_delay_alu instid0(VALU_DEP_4)
	v_and_or_b32 v12, 0xffe, v17, v12
	v_cvt_f64_f32_e32 v[16:17], v19
	s_or_b32 vcc_lo, s0, vcc_lo
	v_sub_nc_u32_e32 v19, 0x3f1, v24
	s_wait_alu 0xfffe
	v_add_co_ci_u32_e32 v2, vcc_lo, 0, v2, vcc_lo
	v_cmp_ne_u32_e32 vcc_lo, 0, v6
	v_or_b32_e32 v10, 0x1000, v12
	v_med3_i32 v19, v19, 0, 13
	v_and_or_b32 v14, 0x1ff, v15, v14
	v_lshrrev_b32_e32 v25, 8, v15
	s_wait_alu 0xfffd
	v_cndmask_b32_e64 v6, 0, 1, vcc_lo
	v_cmp_gt_i32_e32 vcc_lo, 31, v18
	v_lshrrev_b32_e32 v23, v19, v10
	v_bfe_u32 v26, v15, 20, 11
	v_add_nc_u32_e32 v24, 0xfffffc10, v24
	v_lshl_or_b32 v6, v6, 9, 0x7c00
	s_wait_alu 0xfffd
	v_cndmask_b32_e32 v21, 0x7c00, v2, vcc_lo
	v_cvt_f32_f16_e32 v2, v3
	v_lshlrev_b32_e32 v19, v19, v23
	v_cmp_ne_u32_e32 vcc_lo, 0, v14
	v_lshrrev_b32_e32 v15, 16, v15
	s_delay_alu instid0(VALU_DEP_4) | instskip(SKIP_4) | instid1(VALU_DEP_3)
	v_cvt_f64_f32_e32 v[2:3], v2
	s_wait_alu 0xfffd
	v_cndmask_b32_e64 v14, 0, 1, vcc_lo
	v_cmp_ne_u32_e32 vcc_lo, v19, v10
	v_sub_nc_u32_e32 v19, 0x3f1, v26
	v_and_or_b32 v14, 0xffe, v25, v14
	s_wait_alu 0xfffd
	v_cndmask_b32_e64 v10, 0, 1, vcc_lo
	v_cmp_eq_u32_e32 vcc_lo, 0x40f, v18
	v_lshl_or_b32 v18, v24, 12, v12
	v_med3_i32 v19, v19, 0, 13
	s_delay_alu instid0(VALU_DEP_4)
	v_or_b32_e32 v10, v23, v10
	s_wait_alu 0xfffd
	v_cndmask_b32_e32 v6, v21, v6, vcc_lo
	v_or_b32_e32 v21, 0x1000, v14
	v_cmp_gt_i32_e32 vcc_lo, 1, v24
	v_mul_f64_e32 v[16:17], s[8:9], v[16:17]
	s_delay_alu instid0(VALU_DEP_4)
	v_and_or_b32 v4, 0x8000, v11, v6
	v_and_b32_e32 v6, 0xffff, v20
	s_wait_alu 0xfffd
	v_cndmask_b32_e32 v10, v18, v10, vcc_lo
	v_lshrrev_b32_e32 v18, v19, v21
	v_lshrrev_b32_e32 v20, 16, v5
	v_add_co_u32 v8, vcc_lo, v8, s6
	s_delay_alu instid0(VALU_DEP_4) | instskip(NEXT) | instid1(VALU_DEP_4)
	v_and_b32_e32 v11, 7, v10
	v_lshlrev_b32_e32 v19, v19, v18
	s_wait_alu 0xfffd
	v_add_co_ci_u32_e32 v9, vcc_lo, s7, v9, vcc_lo
	v_mul_f16_e32 v22, v50, v20
	v_cmp_lt_i32_e32 vcc_lo, 5, v11
	v_cmp_ne_u32_e64 s1, v19, v21
	v_cmp_eq_u32_e64 s0, 3, v11
	v_lshrrev_b32_e32 v10, 2, v10
	v_fmac_f16_e32 v22, v49, v5
	v_lshl_or_b32 v6, v4, 16, v6
	s_wait_alu 0xf1ff
	v_cndmask_b32_e64 v11, 0, 1, s1
	s_or_b32 vcc_lo, s0, vcc_lo
	v_cmp_eq_u32_e64 s1, 0x40f, v24
	s_wait_alu 0xfffe
	v_add_co_ci_u32_e32 v23, vcc_lo, 0, v10, vcc_lo
	v_or_b32_e32 v25, v18, v11
	v_mul_f64_e32 v[10:11], s[8:9], v[2:3]
	v_cvt_f32_f16_e32 v2, v22
	v_add_nc_u32_e32 v21, 0xfffffc10, v26
	v_cmp_ne_u32_e32 vcc_lo, 0, v12
	v_mul_f16_e32 v5, v50, v5
	s_delay_alu instid0(VALU_DEP_4) | instskip(NEXT) | instid1(VALU_DEP_4)
	v_cvt_f64_f32_e32 v[18:19], v2
	v_lshl_or_b32 v3, v21, 12, v14
	s_wait_alu 0xfffd
	v_cndmask_b32_e64 v4, 0, 1, vcc_lo
	v_cmp_gt_i32_e32 vcc_lo, 1, v21
	v_fma_f16 v20, v49, v20, -v5
	v_and_or_b32 v16, 0x1ff, v17, v16
	s_delay_alu instid0(VALU_DEP_4)
	v_lshl_or_b32 v4, v4, 9, 0x7c00
	s_wait_alu 0xfffd
	v_cndmask_b32_e32 v12, v3, v25, vcc_lo
	v_cmp_gt_i32_e32 vcc_lo, 31, v24
	v_lshrrev_b32_e32 v25, 8, v17
	v_cmp_ne_u32_e64 s0, 0, v16
	v_bfe_u32 v26, v17, 20, 11
	v_lshrrev_b32_e32 v24, 16, v13
	s_wait_alu 0xfffd
	v_dual_cndmask_b32 v22, 0x7c00, v23 :: v_dual_and_b32 v23, 7, v12
	v_add_co_u32 v2, vcc_lo, v8, s6
	s_wait_alu 0xfffd
	v_add_co_ci_u32_e32 v3, vcc_lo, s7, v9, vcc_lo
	s_delay_alu instid0(VALU_DEP_3)
	v_cmp_lt_i32_e32 vcc_lo, 5, v23
	s_wait_alu 0xf1ff
	v_cndmask_b32_e64 v16, 0, 1, s0
	v_cmp_eq_u32_e64 s0, 3, v23
	v_cndmask_b32_e64 v22, v22, v4, s1
	v_lshrrev_b32_e32 v4, 2, v12
	v_sub_nc_u32_e32 v12, 0x3f1, v26
	v_and_or_b32 v16, 0xffe, v25, v16
	s_or_b32 vcc_lo, s0, vcc_lo
	v_and_or_b32 v22, 0x8000, v24, v22
	s_wait_alu 0xfffe
	v_add_co_ci_u32_e32 v4, vcc_lo, 0, v4, vcc_lo
	v_cmp_ne_u32_e32 vcc_lo, 0, v14
	v_or_b32_e32 v23, 0x1000, v16
	v_med3_i32 v12, v12, 0, 13
	v_and_or_b32 v10, 0x1ff, v11, v10
	global_store_b32 v[8:9], v0, off
	global_store_b32 v[2:3], v6, off
	s_wait_alu 0xfffd
	v_cndmask_b32_e64 v13, 0, 1, vcc_lo
	v_cmp_gt_i32_e32 vcc_lo, 31, v21
	v_lshrrev_b32_e32 v14, v12, v23
	s_delay_alu instid0(VALU_DEP_3)
	v_lshl_or_b32 v27, v13, 9, 0x7c00
	s_wait_alu 0xfffd
	v_cndmask_b32_e32 v25, 0x7c00, v4, vcc_lo
	v_cmp_ne_u32_e32 vcc_lo, 0, v10
	v_mul_f64_e32 v[4:5], s[8:9], v[18:19]
	v_lshlrev_b32_e32 v28, v12, v14
	v_cvt_f32_f16_e32 v12, v20
	v_lshrrev_b32_e32 v18, 8, v11
	s_wait_alu 0xfffd
	v_cndmask_b32_e64 v10, 0, 1, vcc_lo
	v_cmp_eq_u32_e32 vcc_lo, 0x40f, v21
	v_bfe_u32 v19, v11, 20, 11
	v_cvt_f64_f32_e32 v[12:13], v12
	v_lshrrev_b32_e32 v11, 16, v11
	v_and_or_b32 v10, 0xffe, v18, v10
	s_wait_alu 0xfffd
	v_cndmask_b32_e32 v20, v25, v27, vcc_lo
	v_cmp_ne_u32_e32 vcc_lo, v28, v23
	v_add_nc_u32_e32 v23, 0xfffffc10, v26
	v_sub_nc_u32_e32 v18, 0x3f1, v19
	v_or_b32_e32 v25, 0x1000, v10
	v_lshrrev_b32_e32 v26, 16, v1
	s_wait_alu 0xfffd
	v_cndmask_b32_e64 v21, 0, 1, vcc_lo
	v_cmp_gt_i32_e32 vcc_lo, 1, v23
	v_med3_i32 v18, v18, 0, 13
	v_and_or_b32 v15, 0x8000, v15, v20
	v_and_b32_e32 v20, 0xffff, v22
	v_or_b32_e32 v14, v14, v21
	v_lshl_or_b32 v21, v23, 12, v16
	v_lshrrev_b32_e32 v27, v18, v25
	s_delay_alu instid0(VALU_DEP_4) | instskip(SKIP_1) | instid1(VALU_DEP_3)
	v_lshl_or_b32 v0, v15, 16, v20
	s_wait_alu 0xfffd
	v_cndmask_b32_e32 v14, v21, v14, vcc_lo
	v_mul_f16_e32 v21, v48, v26
	v_lshlrev_b32_e32 v18, v18, v27
	s_delay_alu instid0(VALU_DEP_3) | instskip(NEXT) | instid1(VALU_DEP_3)
	v_and_b32_e32 v22, 7, v14
	v_fmac_f16_e32 v21, v47, v1
	s_delay_alu instid0(VALU_DEP_3)
	v_cmp_ne_u32_e64 s0, v18, v25
	v_add_nc_u32_e32 v18, 0xfffffc10, v19
	v_mul_f16_e32 v1, v48, v1
	v_cmp_lt_i32_e32 vcc_lo, 5, v22
	v_cvt_f32_f16_e32 v6, v21
	s_wait_alu 0xf1ff
	v_cndmask_b32_e64 v15, 0, 1, s0
	v_cmp_eq_u32_e64 s0, 3, v22
	v_and_or_b32 v4, 0x1ff, v5, v4
	v_lshrrev_b32_e32 v19, 8, v5
	v_cvt_f64_f32_e32 v[8:9], v6
	v_lshrrev_b32_e32 v6, 2, v14
	s_or_b32 vcc_lo, s0, vcc_lo
	v_cmp_ne_u32_e64 s1, 0, v4
	v_or_b32_e32 v14, v27, v15
	v_lshl_or_b32 v15, v18, 12, v10
	s_wait_alu 0xfffe
	v_add_co_ci_u32_e32 v6, vcc_lo, 0, v6, vcc_lo
	v_mul_f64_e32 v[12:13], s[8:9], v[12:13]
	v_cmp_gt_i32_e32 vcc_lo, 1, v18
	s_wait_alu 0xf1ff
	v_cndmask_b32_e64 v4, 0, 1, s1
	v_bfe_u32 v20, v5, 20, 11
	v_cmp_eq_u32_e64 s1, 0x40f, v23
	v_fma_f16 v1, v47, v26, -v1
	s_wait_alu 0xfffd
	v_cndmask_b32_e32 v14, v15, v14, vcc_lo
	v_cmp_ne_u32_e32 vcc_lo, 0, v16
	v_and_or_b32 v4, 0xffe, v19, v4
	v_sub_nc_u32_e32 v15, 0x3f1, v20
	v_cvt_f32_f16_e32 v1, v1
	v_and_b32_e32 v19, 7, v14
	s_wait_alu 0xfffd
	v_cndmask_b32_e64 v16, 0, 1, vcc_lo
	v_cmp_gt_i32_e32 vcc_lo, 31, v23
	v_or_b32_e32 v21, 0x1000, v4
	v_med3_i32 v15, v15, 0, 13
	v_cmp_eq_u32_e64 s0, 3, v19
	v_lshrrev_b32_e32 v14, 2, v14
	s_wait_alu 0xfffd
	v_cndmask_b32_e32 v6, 0x7c00, v6, vcc_lo
	v_cmp_lt_i32_e32 vcc_lo, 5, v19
	v_lshrrev_b32_e32 v22, v15, v21
	v_lshl_or_b32 v16, v16, 9, 0x7c00
	s_or_b32 vcc_lo, s0, vcc_lo
	s_delay_alu instid0(VALU_DEP_2)
	v_lshlrev_b32_e32 v15, v15, v22
	s_wait_alu 0xfffe
	v_add_co_ci_u32_e32 v14, vcc_lo, 0, v14, vcc_lo
	v_cmp_ne_u32_e32 vcc_lo, 0, v10
	v_cndmask_b32_e64 v6, v6, v16, s1
	v_mul_f64_e32 v[8:9], s[8:9], v[8:9]
	v_lshrrev_b32_e32 v16, 16, v17
	v_add_nc_u32_e32 v17, 0xfffffc10, v20
	s_wait_alu 0xfffd
	v_cndmask_b32_e64 v10, 0, 1, vcc_lo
	v_cmp_ne_u32_e32 vcc_lo, v15, v21
	v_lshrrev_b32_e32 v21, 16, v7
	v_and_or_b32 v16, 0x8000, v16, v6
	v_and_or_b32 v12, 0x1ff, v13, v12
	s_wait_alu 0xfffd
	v_cndmask_b32_e64 v15, 0, 1, vcc_lo
	v_cmp_gt_i32_e32 vcc_lo, 31, v18
	v_lshrrev_b32_e32 v20, 8, v13
	v_lshl_or_b32 v10, v10, 9, 0x7c00
	v_and_b32_e32 v16, 0xffff, v16
	s_wait_alu 0xfffd
	v_cndmask_b32_e32 v19, 0x7c00, v14, vcc_lo
	v_or_b32_e32 v14, v22, v15
	v_lshl_or_b32 v15, v17, 12, v4
	v_cmp_gt_i32_e32 vcc_lo, 1, v17
	s_wait_alu 0xfffd
	s_delay_alu instid0(VALU_DEP_2)
	v_cndmask_b32_e32 v6, v15, v14, vcc_lo
	v_cmp_ne_u32_e32 vcc_lo, 0, v12
	v_cvt_f64_f32_e32 v[14:15], v1
	v_bfe_u32 v1, v13, 20, 11
	v_lshrrev_b32_e32 v13, 16, v13
	s_wait_alu 0xfffd
	v_cndmask_b32_e64 v12, 0, 1, vcc_lo
	v_cmp_eq_u32_e32 vcc_lo, 0x40f, v18
	v_and_b32_e32 v18, 7, v6
	v_lshrrev_b32_e32 v6, 2, v6
	v_add_nc_u32_e32 v24, 0xfffffc10, v1
	v_and_or_b32 v12, 0xffe, v20, v12
	v_mul_f16_e32 v20, v46, v21
	s_wait_alu 0xfffd
	v_cndmask_b32_e32 v10, v19, v10, vcc_lo
	v_sub_nc_u32_e32 v19, 0x3f1, v1
	v_cmp_lt_i32_e32 vcc_lo, 5, v18
	v_cmp_eq_u32_e64 s0, 3, v18
	v_fmac_f16_e32 v20, v45, v7
	v_or_b32_e32 v22, 0x1000, v12
	v_med3_i32 v19, v19, 0, 13
	v_and_or_b32 v18, 0x8000, v11, v10
	s_or_b32 vcc_lo, s0, vcc_lo
	v_cvt_f32_f16_e32 v10, v20
	s_wait_alu 0xfffe
	v_add_co_ci_u32_e32 v20, vcc_lo, 0, v6, vcc_lo
	v_lshrrev_b32_e32 v23, v19, v22
	v_and_or_b32 v8, 0x1ff, v9, v8
	v_cvt_f64_f32_e32 v[10:11], v10
	v_cmp_ne_u32_e32 vcc_lo, 0, v4
	v_mul_f16_e32 v7, v46, v7
	v_lshlrev_b32_e32 v6, v19, v23
	v_lshrrev_b32_e32 v19, 8, v9
	v_lshl_or_b32 v16, v18, 16, v16
	s_wait_alu 0xfffd
	v_cndmask_b32_e64 v4, 0, 1, vcc_lo
	v_cmp_ne_u32_e32 vcc_lo, 0, v8
	v_fma_f16 v7, v45, v21, -v7
	v_lshrrev_b32_e32 v18, 16, v5
	s_delay_alu instid0(VALU_DEP_4)
	v_lshl_or_b32 v4, v4, 9, 0x7c00
	s_wait_alu 0xfffd
	v_cndmask_b32_e64 v8, 0, 1, vcc_lo
	v_cmp_ne_u32_e32 vcc_lo, v6, v22
	v_cvt_f32_f16_e32 v1, v7
	v_bfe_u32 v22, v9, 20, 11
	v_mul_f64_e32 v[6:7], s[8:9], v[14:15]
	v_and_or_b32 v8, 0xffe, v19, v8
	s_wait_alu 0xfffd
	v_cndmask_b32_e64 v21, 0, 1, vcc_lo
	v_cmp_gt_i32_e32 vcc_lo, 31, v17
	v_cvt_f64_f32_e32 v[14:15], v1
	v_sub_nc_u32_e32 v19, 0x3f1, v22
	v_or_b32_e32 v25, 0x1000, v8
	v_or_b32_e32 v21, v23, v21
	v_lshl_or_b32 v23, v24, 12, v12
	s_wait_alu 0xfffd
	v_cndmask_b32_e32 v20, 0x7c00, v20, vcc_lo
	v_cmp_gt_i32_e32 vcc_lo, 1, v24
	v_med3_i32 v19, v19, 0, 13
	v_lshrrev_b32_e32 v9, 16, v9
	s_wait_alu 0xfffd
	v_cndmask_b32_e32 v21, v23, v21, vcc_lo
	v_add_co_u32 v1, vcc_lo, v2, s6
	s_wait_alu 0xfffd
	v_add_co_ci_u32_e32 v2, vcc_lo, s7, v3, vcc_lo
	s_delay_alu instid0(VALU_DEP_3) | instskip(SKIP_3) | instid1(VALU_DEP_4)
	v_and_b32_e32 v3, 7, v21
	v_cmp_eq_u32_e32 vcc_lo, 0x40f, v17
	v_lshrrev_b32_e32 v26, v19, v25
	v_lshrrev_b32_e32 v5, 2, v21
	v_cmp_eq_u32_e64 s0, 3, v3
	s_wait_alu 0xfffd
	v_cndmask_b32_e32 v17, v20, v4, vcc_lo
	v_cmp_lt_i32_e32 vcc_lo, 5, v3
	v_lshlrev_b32_e32 v19, v19, v26
	v_mul_f64_e32 v[3:4], s[8:9], v[10:11]
	s_delay_alu instid0(VALU_DEP_4) | instskip(SKIP_1) | instid1(VALU_DEP_3)
	v_and_or_b32 v17, 0x8000, v18, v17
	s_or_b32 vcc_lo, s0, vcc_lo
	v_cmp_ne_u32_e64 s1, v19, v25
	s_wait_alu 0xfffe
	v_add_co_ci_u32_e32 v5, vcc_lo, 0, v5, vcc_lo
	v_cmp_ne_u32_e32 vcc_lo, 0, v12
	v_add_nc_u32_e32 v19, 0xfffffc10, v22
	s_wait_alu 0xf1ff
	v_cndmask_b32_e64 v10, 0, 1, s1
	v_and_or_b32 v22, 0x1ff, v7, v6
	v_and_b32_e32 v17, 0xffff, v17
	s_wait_alu 0xfffd
	v_cndmask_b32_e64 v11, 0, 1, vcc_lo
	v_cmp_gt_i32_e32 vcc_lo, 31, v24
	v_or_b32_e32 v12, v26, v10
	v_lshl_or_b32 v20, v19, 12, v8
	s_delay_alu instid0(VALU_DEP_4)
	v_lshl_or_b32 v23, v11, 9, 0x7c00
	s_wait_alu 0xfffd
	v_cndmask_b32_e32 v21, 0x7c00, v5, vcc_lo
	v_add_co_u32 v10, vcc_lo, v1, s2
	s_wait_alu 0xfffd
	v_add_co_ci_u32_e32 v11, vcc_lo, s3, v2, vcc_lo
	v_cmp_gt_i32_e32 vcc_lo, 1, v19
	v_mul_f64_e32 v[5:6], s[8:9], v[14:15]
	v_lshrrev_b32_e32 v15, 8, v7
	s_wait_alu 0xfffd
	v_cndmask_b32_e32 v12, v20, v12, vcc_lo
	v_cmp_ne_u32_e32 vcc_lo, 0, v22
	v_bfe_u32 v20, v7, 20, 11
	v_lshrrev_b32_e32 v7, 16, v7
	s_delay_alu instid0(VALU_DEP_4)
	v_and_b32_e32 v22, 7, v12
	s_wait_alu 0xfffd
	v_cndmask_b32_e64 v14, 0, 1, vcc_lo
	v_cmp_eq_u32_e32 vcc_lo, 0x40f, v24
	v_lshrrev_b32_e32 v12, 2, v12
	v_cmp_eq_u32_e64 s0, 3, v22
	s_delay_alu instid0(VALU_DEP_4)
	v_and_or_b32 v14, 0xffe, v15, v14
	v_sub_nc_u32_e32 v15, 0x3f1, v20
	s_wait_alu 0xfffd
	v_cndmask_b32_e32 v21, v21, v23, vcc_lo
	v_cmp_lt_i32_e32 vcc_lo, 5, v22
	v_and_or_b32 v3, 0x1ff, v4, v3
	v_or_b32_e32 v18, 0x1000, v14
	v_med3_i32 v15, v15, 0, 13
	v_and_or_b32 v13, 0x8000, v13, v21
	s_or_b32 vcc_lo, s0, vcc_lo
	v_lshrrev_b32_e32 v22, 8, v4
	s_wait_alu 0xfffe
	v_add_co_ci_u32_e32 v12, vcc_lo, 0, v12, vcc_lo
	v_lshrrev_b32_e32 v21, v15, v18
	v_cmp_ne_u32_e32 vcc_lo, 0, v3
	v_bfe_u32 v23, v4, 20, 11
	v_lshrrev_b32_e32 v4, 16, v4
	s_delay_alu instid0(VALU_DEP_4) | instskip(SKIP_3) | instid1(VALU_DEP_2)
	v_lshlrev_b32_e32 v15, v15, v21
	s_wait_alu 0xfffd
	v_cndmask_b32_e64 v3, 0, 1, vcc_lo
	v_cmp_ne_u32_e32 vcc_lo, 0, v8
	v_and_or_b32 v3, 0xffe, v22, v3
	s_wait_alu 0xfffd
	v_cndmask_b32_e64 v8, 0, 1, vcc_lo
	v_sub_nc_u32_e32 v22, 0x3f1, v23
	v_cmp_ne_u32_e32 vcc_lo, v15, v18
	v_and_or_b32 v5, 0x1ff, v6, v5
	v_add_nc_u32_e32 v18, 0xfffffc10, v20
	v_or_b32_e32 v20, 0x1000, v3
	v_med3_i32 v22, v22, 0, 13
	s_wait_alu 0xfffd
	v_cndmask_b32_e64 v15, 0, 1, vcc_lo
	v_cmp_gt_i32_e32 vcc_lo, 31, v19
	v_lshrrev_b32_e32 v24, 8, v6
	v_bfe_u32 v25, v6, 20, 11
	v_lshrrev_b32_e32 v26, v22, v20
	v_or_b32_e32 v15, v21, v15
	s_wait_alu 0xfffd
	v_cndmask_b32_e32 v12, 0x7c00, v12, vcc_lo
	v_cmp_ne_u32_e32 vcc_lo, 0, v5
	v_lshl_or_b32 v21, v18, 12, v14
	v_lshl_or_b32 v8, v8, 9, 0x7c00
	v_lshrrev_b32_e32 v6, 16, v6
	s_wait_alu 0xfffd
	v_cndmask_b32_e64 v5, 0, 1, vcc_lo
	v_cmp_gt_i32_e32 vcc_lo, 1, v18
	s_delay_alu instid0(VALU_DEP_2)
	v_and_or_b32 v5, 0xffe, v24, v5
	v_sub_nc_u32_e32 v24, 0x3f1, v25
	s_wait_alu 0xfffd
	v_cndmask_b32_e32 v15, v21, v15, vcc_lo
	v_lshlrev_b32_e32 v21, v22, v26
	v_cmp_eq_u32_e32 vcc_lo, 0x40f, v19
	v_or_b32_e32 v22, 0x1000, v5
	v_med3_i32 v24, v24, 0, 13
	v_add_nc_u32_e32 v19, 0xfffffc10, v23
	s_wait_alu 0xfffd
	v_dual_cndmask_b32 v8, v12, v8 :: v_dual_and_b32 v27, 7, v15
	v_cmp_ne_u32_e32 vcc_lo, v21, v20
	v_lshrrev_b32_e32 v20, v24, v22
	v_lshl_or_b32 v21, v19, 12, v3
	v_cmp_gt_i32_e64 s1, 1, v19
	v_cmp_eq_u32_e64 s0, 3, v27
	s_wait_alu 0xfffd
	v_cndmask_b32_e64 v12, 0, 1, vcc_lo
	v_lshlrev_b32_e32 v23, v24, v20
	v_cmp_lt_i32_e32 vcc_lo, 5, v27
	v_lshrrev_b32_e32 v15, 2, v15
	v_and_or_b32 v8, 0x8000, v9, v8
	v_or_b32_e32 v12, v26, v12
	s_or_b32 vcc_lo, s0, vcc_lo
	s_wait_alu 0xfffe
	v_add_co_ci_u32_e32 v15, vcc_lo, 0, v15, vcc_lo
	s_delay_alu instid0(VALU_DEP_2)
	v_cndmask_b32_e64 v12, v21, v12, s1
	v_cmp_ne_u32_e64 s1, v23, v22
	v_add_nc_u32_e32 v22, 0xfffffc10, v25
	v_cmp_ne_u32_e32 vcc_lo, 0, v14
	v_and_b32_e32 v8, 0xffff, v8
	v_and_b32_e32 v23, 7, v12
	s_wait_alu 0xf1ff
	v_cndmask_b32_e64 v21, 0, 1, s1
	v_cmp_gt_i32_e64 s0, 1, v22
	s_wait_alu 0xfffd
	v_cndmask_b32_e64 v14, 0, 1, vcc_lo
	v_lshrrev_b32_e32 v12, 2, v12
	v_cmp_lt_i32_e32 vcc_lo, 5, v23
	v_or_b32_e32 v20, v20, v21
	v_lshl_or_b32 v21, v22, 12, v5
	v_cmp_gt_i32_e64 s1, 31, v18
	v_lshl_or_b32 v14, v14, 9, 0x7c00
	s_wait_alu 0xf1ff
	s_delay_alu instid0(VALU_DEP_3) | instskip(SKIP_3) | instid1(VALU_DEP_4)
	v_cndmask_b32_e64 v9, v21, v20, s0
	v_cmp_eq_u32_e64 s0, 3, v23
	v_cndmask_b32_e64 v15, 0x7c00, v15, s1
	v_cmp_eq_u32_e64 s1, 0x40f, v18
	v_and_b32_e32 v20, 7, v9
	s_delay_alu instid0(VALU_DEP_4)
	s_or_b32 vcc_lo, s0, vcc_lo
	v_lshrrev_b32_e32 v9, 2, v9
	s_wait_alu 0xfffe
	v_add_co_ci_u32_e32 v12, vcc_lo, 0, v12, vcc_lo
	v_cmp_ne_u32_e32 vcc_lo, 0, v3
	v_cmp_eq_u32_e64 s0, 3, v20
	v_cndmask_b32_e64 v14, v15, v14, s1
	v_cmp_gt_i32_e64 s1, 31, v19
	s_wait_alu 0xfffd
	v_cndmask_b32_e64 v3, 0, 1, vcc_lo
	v_cmp_lt_i32_e32 vcc_lo, 5, v20
	v_and_or_b32 v7, 0x8000, v7, v14
	s_wait_alu 0xf1ff
	v_cndmask_b32_e64 v12, 0x7c00, v12, s1
	v_lshl_or_b32 v3, v3, 9, 0x7c00
	s_or_b32 vcc_lo, s0, vcc_lo
	s_wait_alu 0xfffe
	v_add_co_ci_u32_e32 v9, vcc_lo, 0, v9, vcc_lo
	v_cmp_ne_u32_e32 vcc_lo, 0, v5
	s_wait_alu 0xfffd
	v_cndmask_b32_e64 v5, 0, 1, vcc_lo
	v_cmp_eq_u32_e32 vcc_lo, 0x40f, v19
	s_delay_alu instid0(VALU_DEP_2) | instskip(SKIP_4) | instid1(VALU_DEP_3)
	v_lshl_or_b32 v5, v5, 9, 0x7c00
	s_wait_alu 0xfffd
	v_cndmask_b32_e32 v3, v12, v3, vcc_lo
	v_cmp_gt_i32_e32 vcc_lo, 31, v22
	v_lshl_or_b32 v12, v13, 16, v17
	v_and_or_b32 v13, 0x8000, v4, v3
	s_wait_alu 0xfffd
	v_cndmask_b32_e32 v9, 0x7c00, v9, vcc_lo
	v_cmp_eq_u32_e32 vcc_lo, 0x40f, v22
	s_wait_alu 0xfffd
	s_delay_alu instid0(VALU_DEP_2)
	v_cndmask_b32_e32 v5, v9, v5, vcc_lo
	v_add_co_u32 v3, vcc_lo, v10, s6
	s_wait_alu 0xfffd
	v_add_co_ci_u32_e32 v4, vcc_lo, s7, v11, vcc_lo
	v_lshl_or_b32 v9, v7, 16, v8
	v_and_or_b32 v7, 0x8000, v6, v5
	v_and_b32_e32 v8, 0xffff, v13
	v_add_co_u32 v5, vcc_lo, v3, s6
	s_wait_alu 0xfffd
	v_add_co_ci_u32_e32 v6, vcc_lo, s7, v4, vcc_lo
	s_delay_alu instid0(VALU_DEP_3) | instskip(NEXT) | instid1(VALU_DEP_3)
	v_lshl_or_b32 v13, v7, 16, v8
	v_add_co_u32 v7, vcc_lo, v5, s6
	s_wait_alu 0xfffd
	s_delay_alu instid0(VALU_DEP_3)
	v_add_co_ci_u32_e32 v8, vcc_lo, s7, v6, vcc_lo
	global_store_b32 v[1:2], v0, off
	global_store_b32 v[10:11], v16, off
	global_store_b32 v[3:4], v12, off
	global_store_b32 v[5:6], v9, off
	global_store_b32 v[7:8], v13, off
.LBB0_2:
	s_nop 0
	s_sendmsg sendmsg(MSG_DEALLOC_VGPRS)
	s_endpgm
	.section	.rodata,"a",@progbits
	.p2align	6, 0x0
	.amdhsa_kernel bluestein_single_fwd_len2560_dim1_half_op_CI_CI
		.amdhsa_group_segment_fixed_size 10240
		.amdhsa_private_segment_fixed_size 0
		.amdhsa_kernarg_size 104
		.amdhsa_user_sgpr_count 2
		.amdhsa_user_sgpr_dispatch_ptr 0
		.amdhsa_user_sgpr_queue_ptr 0
		.amdhsa_user_sgpr_kernarg_segment_ptr 1
		.amdhsa_user_sgpr_dispatch_id 0
		.amdhsa_user_sgpr_private_segment_size 0
		.amdhsa_wavefront_size32 1
		.amdhsa_uses_dynamic_stack 0
		.amdhsa_enable_private_segment 0
		.amdhsa_system_sgpr_workgroup_id_x 1
		.amdhsa_system_sgpr_workgroup_id_y 0
		.amdhsa_system_sgpr_workgroup_id_z 0
		.amdhsa_system_sgpr_workgroup_info 0
		.amdhsa_system_vgpr_workitem_id 0
		.amdhsa_next_free_vgpr 166
		.amdhsa_next_free_sgpr 20
		.amdhsa_reserve_vcc 1
		.amdhsa_float_round_mode_32 0
		.amdhsa_float_round_mode_16_64 0
		.amdhsa_float_denorm_mode_32 3
		.amdhsa_float_denorm_mode_16_64 3
		.amdhsa_fp16_overflow 0
		.amdhsa_workgroup_processor_mode 1
		.amdhsa_memory_ordered 1
		.amdhsa_forward_progress 0
		.amdhsa_round_robin_scheduling 0
		.amdhsa_exception_fp_ieee_invalid_op 0
		.amdhsa_exception_fp_denorm_src 0
		.amdhsa_exception_fp_ieee_div_zero 0
		.amdhsa_exception_fp_ieee_overflow 0
		.amdhsa_exception_fp_ieee_underflow 0
		.amdhsa_exception_fp_ieee_inexact 0
		.amdhsa_exception_int_div_zero 0
	.end_amdhsa_kernel
	.text
.Lfunc_end0:
	.size	bluestein_single_fwd_len2560_dim1_half_op_CI_CI, .Lfunc_end0-bluestein_single_fwd_len2560_dim1_half_op_CI_CI
                                        ; -- End function
	.section	.AMDGPU.csdata,"",@progbits
; Kernel info:
; codeLenInByte = 33116
; NumSgprs: 22
; NumVgprs: 166
; ScratchSize: 0
; MemoryBound: 0
; FloatMode: 240
; IeeeMode: 1
; LDSByteSize: 10240 bytes/workgroup (compile time only)
; SGPRBlocks: 2
; VGPRBlocks: 20
; NumSGPRsForWavesPerEU: 22
; NumVGPRsForWavesPerEU: 166
; Occupancy: 9
; WaveLimiterHint : 1
; COMPUTE_PGM_RSRC2:SCRATCH_EN: 0
; COMPUTE_PGM_RSRC2:USER_SGPR: 2
; COMPUTE_PGM_RSRC2:TRAP_HANDLER: 0
; COMPUTE_PGM_RSRC2:TGID_X_EN: 1
; COMPUTE_PGM_RSRC2:TGID_Y_EN: 0
; COMPUTE_PGM_RSRC2:TGID_Z_EN: 0
; COMPUTE_PGM_RSRC2:TIDIG_COMP_CNT: 0
	.text
	.p2alignl 7, 3214868480
	.fill 96, 4, 3214868480
	.type	__hip_cuid_ec67ea9d30adc513,@object ; @__hip_cuid_ec67ea9d30adc513
	.section	.bss,"aw",@nobits
	.globl	__hip_cuid_ec67ea9d30adc513
__hip_cuid_ec67ea9d30adc513:
	.byte	0                               ; 0x0
	.size	__hip_cuid_ec67ea9d30adc513, 1

	.ident	"AMD clang version 19.0.0git (https://github.com/RadeonOpenCompute/llvm-project roc-6.4.0 25133 c7fe45cf4b819c5991fe208aaa96edf142730f1d)"
	.section	".note.GNU-stack","",@progbits
	.addrsig
	.addrsig_sym __hip_cuid_ec67ea9d30adc513
	.amdgpu_metadata
---
amdhsa.kernels:
  - .args:
      - .actual_access:  read_only
        .address_space:  global
        .offset:         0
        .size:           8
        .value_kind:     global_buffer
      - .actual_access:  read_only
        .address_space:  global
        .offset:         8
        .size:           8
        .value_kind:     global_buffer
      - .actual_access:  read_only
        .address_space:  global
        .offset:         16
        .size:           8
        .value_kind:     global_buffer
      - .actual_access:  read_only
        .address_space:  global
        .offset:         24
        .size:           8
        .value_kind:     global_buffer
      - .actual_access:  read_only
        .address_space:  global
        .offset:         32
        .size:           8
        .value_kind:     global_buffer
      - .offset:         40
        .size:           8
        .value_kind:     by_value
      - .address_space:  global
        .offset:         48
        .size:           8
        .value_kind:     global_buffer
      - .address_space:  global
        .offset:         56
        .size:           8
        .value_kind:     global_buffer
      - .address_space:  global
        .offset:         64
        .size:           8
        .value_kind:     global_buffer
      - .address_space:  global
        .offset:         72
        .size:           8
        .value_kind:     global_buffer
      - .offset:         80
        .size:           4
        .value_kind:     by_value
      - .address_space:  global
        .offset:         88
        .size:           8
        .value_kind:     global_buffer
      - .address_space:  global
        .offset:         96
        .size:           8
        .value_kind:     global_buffer
    .group_segment_fixed_size: 10240
    .kernarg_segment_align: 8
    .kernarg_segment_size: 104
    .language:       OpenCL C
    .language_version:
      - 2
      - 0
    .max_flat_workgroup_size: 128
    .name:           bluestein_single_fwd_len2560_dim1_half_op_CI_CI
    .private_segment_fixed_size: 0
    .sgpr_count:     22
    .sgpr_spill_count: 0
    .symbol:         bluestein_single_fwd_len2560_dim1_half_op_CI_CI.kd
    .uniform_work_group_size: 1
    .uses_dynamic_stack: false
    .vgpr_count:     166
    .vgpr_spill_count: 0
    .wavefront_size: 32
    .workgroup_processor_mode: 1
amdhsa.target:   amdgcn-amd-amdhsa--gfx1201
amdhsa.version:
  - 1
  - 2
...

	.end_amdgpu_metadata
